;; amdgpu-corpus repo=zjin-lcf/HeCBench kind=compiled arch=gfx1250 opt=O3
	.amdgcn_target "amdgcn-amd-amdhsa--gfx1250"
	.amdhsa_code_object_version 6
	.text
	.protected	_Z18processRwmanFaninsPiS_S_ii ; -- Begin function _Z18processRwmanFaninsPiS_S_ii
	.globl	_Z18processRwmanFaninsPiS_S_ii
	.p2align	8
	.type	_Z18processRwmanFaninsPiS_S_ii,@function
_Z18processRwmanFaninsPiS_S_ii:         ; @_Z18processRwmanFaninsPiS_S_ii
; %bb.0:
	s_clause 0x1
	s_load_b32 s4, s[0:1], 0x2c
	s_load_b64 s[2:3], s[0:1], 0x18
	s_bfe_u32 s5, ttmp6, 0x4000c
	s_and_b32 s6, ttmp6, 15
	s_add_co_i32 s5, s5, 1
	s_getreg_b32 s7, hwreg(HW_REG_IB_STS2, 6, 4)
	s_mul_i32 s5, ttmp9, s5
	s_delay_alu instid0(SALU_CYCLE_1) | instskip(SKIP_4) | instid1(SALU_CYCLE_1)
	s_add_co_i32 s6, s6, s5
	s_wait_kmcnt 0x0
	s_and_b32 s4, s4, 0xffff
	s_cmp_eq_u32 s7, 0
	s_cselect_b32 s5, ttmp9, s6
	v_mad_u32 v0, s5, s4, v0
	s_delay_alu instid0(VALU_DEP_1)
	v_cmp_gt_i32_e32 vcc_lo, s3, v0
	s_and_saveexec_b32 s3, vcc_lo
	s_cbranch_execz .LBB0_6
; %bb.1:
	s_load_b128 s[4:7], s[0:1], 0x0
	v_add3_u32 v2, s2, 1, v0
	s_wait_xcnt 0x0
	s_load_b64 s[0:1], s[0:1], 0x10
	s_mov_b32 s2, exec_lo
	s_delay_alu instid0(VALU_DEP_1)
	v_ashrrev_i32_e32 v3, 31, v2
	s_wait_kmcnt 0x0
	global_load_b32 v4, v2, s[4:5] scale_offset
	v_lshl_add_u64 v[0:1], v[2:3], 2, s[4:5]
	s_wait_loadcnt 0x0
	v_cmpx_gt_i32_e32 2, v4
	s_cbranch_execz .LBB0_3
; %bb.2:
	v_sub_nc_u32_e32 v4, 1, v4
	global_store_b32 v[0:1], v4, off
.LBB0_3:
	s_wait_xcnt 0x0
	s_or_b32 exec_lo, exec_lo, s2
	v_lshl_add_u64 v[2:3], v[2:3], 2, s[6:7]
	s_mov_b32 s2, exec_lo
	global_load_b32 v5, v[2:3], off
	s_wait_loadcnt 0x0
	v_cmpx_gt_i32_e32 2, v5
	s_cbranch_execz .LBB0_5
; %bb.4:
	v_sub_nc_u32_e32 v4, 1, v5
	global_store_b32 v[2:3], v4, off
	global_load_b32 v4, v[0:1], off
.LBB0_5:
	s_wait_xcnt 0x0
	s_or_b32 exec_lo, exec_lo, s2
	s_wait_loadcnt 0x0
	v_dual_mov_b32 v0, 1 :: v_dual_ashrrev_i32 v1, 1, v4
	global_atomic_add_u32 v1, v0, s[0:1] scale_offset scope:SCOPE_DEV
	global_load_b32 v1, v[2:3], off
	s_wait_loadcnt 0x0
	v_ashrrev_i32_e32 v1, 1, v1
	s_wait_xcnt 0x0
	global_atomic_add_u32 v1, v0, s[0:1] scale_offset scope:SCOPE_DEV
.LBB0_6:
	s_endpgm
	.section	.rodata,"a",@progbits
	.p2align	6, 0x0
	.amdhsa_kernel _Z18processRwmanFaninsPiS_S_ii
		.amdhsa_group_segment_fixed_size 0
		.amdhsa_private_segment_fixed_size 0
		.amdhsa_kernarg_size 288
		.amdhsa_user_sgpr_count 2
		.amdhsa_user_sgpr_dispatch_ptr 0
		.amdhsa_user_sgpr_queue_ptr 0
		.amdhsa_user_sgpr_kernarg_segment_ptr 1
		.amdhsa_user_sgpr_dispatch_id 0
		.amdhsa_user_sgpr_kernarg_preload_length 0
		.amdhsa_user_sgpr_kernarg_preload_offset 0
		.amdhsa_user_sgpr_private_segment_size 0
		.amdhsa_wavefront_size32 1
		.amdhsa_uses_dynamic_stack 0
		.amdhsa_enable_private_segment 0
		.amdhsa_system_sgpr_workgroup_id_x 1
		.amdhsa_system_sgpr_workgroup_id_y 0
		.amdhsa_system_sgpr_workgroup_id_z 0
		.amdhsa_system_sgpr_workgroup_info 0
		.amdhsa_system_vgpr_workitem_id 0
		.amdhsa_next_free_vgpr 6
		.amdhsa_next_free_sgpr 8
		.amdhsa_named_barrier_count 0
		.amdhsa_reserve_vcc 1
		.amdhsa_float_round_mode_32 0
		.amdhsa_float_round_mode_16_64 0
		.amdhsa_float_denorm_mode_32 3
		.amdhsa_float_denorm_mode_16_64 3
		.amdhsa_fp16_overflow 0
		.amdhsa_memory_ordered 1
		.amdhsa_forward_progress 1
		.amdhsa_inst_pref_size 3
		.amdhsa_round_robin_scheduling 0
		.amdhsa_exception_fp_ieee_invalid_op 0
		.amdhsa_exception_fp_denorm_src 0
		.amdhsa_exception_fp_ieee_div_zero 0
		.amdhsa_exception_fp_ieee_overflow 0
		.amdhsa_exception_fp_ieee_underflow 0
		.amdhsa_exception_fp_ieee_inexact 0
		.amdhsa_exception_int_div_zero 0
	.end_amdhsa_kernel
	.text
.Lfunc_end0:
	.size	_Z18processRwmanFaninsPiS_S_ii, .Lfunc_end0-_Z18processRwmanFaninsPiS_S_ii
                                        ; -- End function
	.set _Z18processRwmanFaninsPiS_S_ii.num_vgpr, 6
	.set _Z18processRwmanFaninsPiS_S_ii.num_agpr, 0
	.set _Z18processRwmanFaninsPiS_S_ii.numbered_sgpr, 8
	.set _Z18processRwmanFaninsPiS_S_ii.num_named_barrier, 0
	.set _Z18processRwmanFaninsPiS_S_ii.private_seg_size, 0
	.set _Z18processRwmanFaninsPiS_S_ii.uses_vcc, 1
	.set _Z18processRwmanFaninsPiS_S_ii.uses_flat_scratch, 0
	.set _Z18processRwmanFaninsPiS_S_ii.has_dyn_sized_stack, 0
	.set _Z18processRwmanFaninsPiS_S_ii.has_recursion, 0
	.set _Z18processRwmanFaninsPiS_S_ii.has_indirect_call, 0
	.section	.AMDGPU.csdata,"",@progbits
; Kernel info:
; codeLenInByte = 332
; TotalNumSgprs: 10
; NumVgprs: 6
; ScratchSize: 0
; MemoryBound: 0
; FloatMode: 240
; IeeeMode: 1
; LDSByteSize: 0 bytes/workgroup (compile time only)
; SGPRBlocks: 0
; VGPRBlocks: 0
; NumSGPRsForWavesPerEU: 10
; NumVGPRsForWavesPerEU: 6
; NamedBarCnt: 0
; Occupancy: 16
; WaveLimiterHint : 1
; COMPUTE_PGM_RSRC2:SCRATCH_EN: 0
; COMPUTE_PGM_RSRC2:USER_SGPR: 2
; COMPUTE_PGM_RSRC2:TRAP_HANDLER: 0
; COMPUTE_PGM_RSRC2:TGID_X_EN: 1
; COMPUTE_PGM_RSRC2:TGID_Y_EN: 0
; COMPUTE_PGM_RSRC2:TGID_Z_EN: 0
; COMPUTE_PGM_RSRC2:TIDIG_COMP_CNT: 0
	.text
	.protected	_Z16processRwmanOutsPiS_i ; -- Begin function _Z16processRwmanOutsPiS_i
	.globl	_Z16processRwmanOutsPiS_i
	.p2align	8
	.type	_Z16processRwmanOutsPiS_i,@function
_Z16processRwmanOutsPiS_i:              ; @_Z16processRwmanOutsPiS_i
; %bb.0:
	s_clause 0x1
	s_load_b32 s2, s[0:1], 0x24
	s_load_b32 s3, s[0:1], 0x10
	s_bfe_u32 s4, ttmp6, 0x4000c
	s_and_b32 s5, ttmp6, 15
	s_add_co_i32 s4, s4, 1
	s_getreg_b32 s6, hwreg(HW_REG_IB_STS2, 6, 4)
	s_mul_i32 s4, ttmp9, s4
	s_delay_alu instid0(SALU_CYCLE_1) | instskip(SKIP_4) | instid1(SALU_CYCLE_1)
	s_add_co_i32 s5, s5, s4
	s_wait_kmcnt 0x0
	s_and_b32 s2, s2, 0xffff
	s_cmp_eq_u32 s6, 0
	s_cselect_b32 s4, ttmp9, s5
	v_mad_u32 v0, s4, s2, v0
	s_mov_b32 s2, exec_lo
	s_delay_alu instid0(VALU_DEP_1)
	v_cmpx_gt_i32_e64 s3, v0
	s_cbranch_execz .LBB1_4
; %bb.1:
	s_load_b128 s[0:3], s[0:1], 0x0
	s_mov_b32 s4, exec_lo
	s_wait_kmcnt 0x0
	global_load_b32 v2, v0, s[0:1] scale_offset
	s_wait_loadcnt 0x0
	v_cmpx_gt_i32_e32 2, v2
	s_cbranch_execz .LBB1_3
; %bb.2:
	v_dual_ashrrev_i32 v1, 31, v0 :: v_dual_sub_nc_u32 v2, 1, v2
	s_delay_alu instid0(VALU_DEP_1)
	v_lshl_add_u64 v[0:1], v[0:1], 2, s[0:1]
	global_store_b32 v[0:1], v2, off
.LBB1_3:
	s_wait_xcnt 0x0
	s_or_b32 exec_lo, exec_lo, s4
	v_dual_mov_b32 v0, 1 :: v_dual_lshrrev_b32 v1, 1, v2
	global_atomic_add_u32 v1, v0, s[2:3] scale_offset scope:SCOPE_DEV
.LBB1_4:
	s_endpgm
	.section	.rodata,"a",@progbits
	.p2align	6, 0x0
	.amdhsa_kernel _Z16processRwmanOutsPiS_i
		.amdhsa_group_segment_fixed_size 0
		.amdhsa_private_segment_fixed_size 0
		.amdhsa_kernarg_size 280
		.amdhsa_user_sgpr_count 2
		.amdhsa_user_sgpr_dispatch_ptr 0
		.amdhsa_user_sgpr_queue_ptr 0
		.amdhsa_user_sgpr_kernarg_segment_ptr 1
		.amdhsa_user_sgpr_dispatch_id 0
		.amdhsa_user_sgpr_kernarg_preload_length 0
		.amdhsa_user_sgpr_kernarg_preload_offset 0
		.amdhsa_user_sgpr_private_segment_size 0
		.amdhsa_wavefront_size32 1
		.amdhsa_uses_dynamic_stack 0
		.amdhsa_enable_private_segment 0
		.amdhsa_system_sgpr_workgroup_id_x 1
		.amdhsa_system_sgpr_workgroup_id_y 0
		.amdhsa_system_sgpr_workgroup_id_z 0
		.amdhsa_system_sgpr_workgroup_info 0
		.amdhsa_system_vgpr_workitem_id 0
		.amdhsa_next_free_vgpr 3
		.amdhsa_next_free_sgpr 7
		.amdhsa_named_barrier_count 0
		.amdhsa_reserve_vcc 0
		.amdhsa_float_round_mode_32 0
		.amdhsa_float_round_mode_16_64 0
		.amdhsa_float_denorm_mode_32 3
		.amdhsa_float_denorm_mode_16_64 3
		.amdhsa_fp16_overflow 0
		.amdhsa_memory_ordered 1
		.amdhsa_forward_progress 1
		.amdhsa_inst_pref_size 2
		.amdhsa_round_robin_scheduling 0
		.amdhsa_exception_fp_ieee_invalid_op 0
		.amdhsa_exception_fp_denorm_src 0
		.amdhsa_exception_fp_ieee_div_zero 0
		.amdhsa_exception_fp_ieee_overflow 0
		.amdhsa_exception_fp_ieee_underflow 0
		.amdhsa_exception_fp_ieee_inexact 0
		.amdhsa_exception_int_div_zero 0
	.end_amdhsa_kernel
	.text
.Lfunc_end1:
	.size	_Z16processRwmanOutsPiS_i, .Lfunc_end1-_Z16processRwmanOutsPiS_i
                                        ; -- End function
	.set _Z16processRwmanOutsPiS_i.num_vgpr, 3
	.set _Z16processRwmanOutsPiS_i.num_agpr, 0
	.set _Z16processRwmanOutsPiS_i.numbered_sgpr, 7
	.set _Z16processRwmanOutsPiS_i.num_named_barrier, 0
	.set _Z16processRwmanOutsPiS_i.private_seg_size, 0
	.set _Z16processRwmanOutsPiS_i.uses_vcc, 0
	.set _Z16processRwmanOutsPiS_i.uses_flat_scratch, 0
	.set _Z16processRwmanOutsPiS_i.has_dyn_sized_stack, 0
	.set _Z16processRwmanOutsPiS_i.has_recursion, 0
	.set _Z16processRwmanOutsPiS_i.has_indirect_call, 0
	.section	.AMDGPU.csdata,"",@progbits
; Kernel info:
; codeLenInByte = 208
; TotalNumSgprs: 7
; NumVgprs: 3
; ScratchSize: 0
; MemoryBound: 0
; FloatMode: 240
; IeeeMode: 1
; LDSByteSize: 0 bytes/workgroup (compile time only)
; SGPRBlocks: 0
; VGPRBlocks: 0
; NumSGPRsForWavesPerEU: 7
; NumVGPRsForWavesPerEU: 3
; NamedBarCnt: 0
; Occupancy: 16
; WaveLimiterHint : 0
; COMPUTE_PGM_RSRC2:SCRATCH_EN: 0
; COMPUTE_PGM_RSRC2:USER_SGPR: 2
; COMPUTE_PGM_RSRC2:TRAP_HANDLER: 0
; COMPUTE_PGM_RSRC2:TGID_X_EN: 1
; COMPUTE_PGM_RSRC2:TGID_Y_EN: 0
; COMPUTE_PGM_RSRC2:TGID_Z_EN: 0
; COMPUTE_PGM_RSRC2:TIDIG_COMP_CNT: 0
	.text
	.p2align	2                               ; -- Begin function __ockl_printf_append_string_n
	.type	__ockl_printf_append_string_n,@function
__ockl_printf_append_string_n:          ; @__ockl_printf_append_string_n
; %bb.0:
	s_wait_loadcnt_dscnt 0x0
	s_wait_kmcnt 0x0
	v_dual_mov_b32 v9, v3 :: v_dual_mov_b32 v8, v2
	v_or_b32_e32 v2, 2, v0
	v_cmp_eq_u32_e64 s0, 0, v6
	v_mbcnt_lo_u32_b32 v30, -1, 0
	s_mov_b32 s7, 0
	v_cndmask_b32_e64 v14, v2, v0, s0
	s_mov_b32 s0, exec_lo
	v_cmpx_ne_u64_e32 0, v[8:9]
	s_xor_b32 s6, exec_lo, s0
	s_cbranch_execz .LBB2_86
; %bb.1:
	s_load_b64 s[2:3], s[8:9], 0x50
	v_mov_b64_e32 v[12:13], 0x100000002
	v_dual_mov_b32 v11, 0 :: v_dual_bitop2_b32 v6, 2, v14 bitop3:0x40
	v_and_b32_e32 v0, -3, v14
	s_mov_b32 s10, 0
	s_branch .LBB2_3
.LBB2_2:                                ;   in Loop: Header=BB2_3 Depth=1
	s_or_b32 exec_lo, exec_lo, s11
	v_sub_nc_u64_e32 v[4:5], v[4:5], v[32:33]
	v_add_nc_u64_e32 v[8:9], v[8:9], v[32:33]
	s_delay_alu instid0(VALU_DEP_2) | instskip(SKIP_1) | instid1(SALU_CYCLE_1)
	v_cmp_eq_u64_e32 vcc_lo, 0, v[4:5]
	s_or_b32 s10, vcc_lo, s10
	s_and_not1_b32 exec_lo, exec_lo, s10
	s_cbranch_execz .LBB2_85
.LBB2_3:                                ; =>This Loop Header: Depth=1
                                        ;     Child Loop BB2_6 Depth 2
                                        ;     Child Loop BB2_14 Depth 2
	;; [unrolled: 1-line block ×11, first 2 shown]
	v_min_u64 v[32:33], v[4:5], 56
	s_delay_alu instid0(VALU_DEP_3)
	v_add_nc_u64_e32 v[16:17], 8, v[8:9]
	s_mov_b32 s0, exec_lo
	v_cmpx_gt_u64_e32 8, v[4:5]
	s_xor_b32 s4, exec_lo, s0
	s_cbranch_execz .LBB2_9
; %bb.4:                                ;   in Loop: Header=BB2_3 Depth=1
	v_mov_b64_e32 v[2:3], 0
	s_mov_b32 s5, exec_lo
	v_cmpx_ne_u64_e32 0, v[4:5]
	s_cbranch_execz .LBB2_8
; %bb.5:                                ;   in Loop: Header=BB2_3 Depth=1
	v_mov_b64_e32 v[2:3], 0
	v_mov_b64_e32 v[14:15], v[8:9]
	v_lshlrev_b32_e32 v10, 3, v32
	s_mov_b64 s[0:1], 0
	s_mov_b32 s11, 0
.LBB2_6:                                ;   Parent Loop BB2_3 Depth=1
                                        ; =>  This Inner Loop Header: Depth=2
	flat_load_u8 v7, v[14:15]
	v_mov_b32_e32 v17, s7
	s_wait_xcnt 0x0
	v_add_nc_u64_e32 v[14:15], 1, v[14:15]
	s_wait_loadcnt_dscnt 0x0
	v_and_b32_e32 v16, 0xffff, v7
	s_delay_alu instid0(VALU_DEP_1) | instskip(SKIP_1) | instid1(SALU_CYCLE_1)
	v_lshlrev_b64_e32 v[16:17], s0, v[16:17]
	s_add_nc_u64 s[0:1], s[0:1], 8
	v_cmp_eq_u32_e32 vcc_lo, s0, v10
	s_delay_alu instid0(VALU_DEP_2) | instskip(NEXT) | instid1(VALU_DEP_3)
	v_or_b32_e32 v3, v17, v3
	v_or_b32_e32 v2, v16, v2
	s_or_b32 s11, vcc_lo, s11
	s_delay_alu instid0(SALU_CYCLE_1)
	s_and_not1_b32 exec_lo, exec_lo, s11
	s_cbranch_execnz .LBB2_6
; %bb.7:                                ;   in Loop: Header=BB2_3 Depth=1
	s_or_b32 exec_lo, exec_lo, s11
.LBB2_8:                                ;   in Loop: Header=BB2_3 Depth=1
	s_delay_alu instid0(SALU_CYCLE_1)
	s_or_b32 exec_lo, exec_lo, s5
	v_mov_b64_e32 v[16:17], v[8:9]
.LBB2_9:                                ;   in Loop: Header=BB2_3 Depth=1
	s_or_saveexec_b32 s0, s4
	v_mov_b32_e32 v7, 0
	s_xor_b32 exec_lo, exec_lo, s0
	s_cbranch_execz .LBB2_11
; %bb.10:                               ;   in Loop: Header=BB2_3 Depth=1
	flat_load_b64 v[2:3], v[8:9]
	v_add_nc_u32_e32 v7, -8, v32
.LBB2_11:                               ;   in Loop: Header=BB2_3 Depth=1
	s_wait_xcnt 0x0
	s_or_b32 exec_lo, exec_lo, s0
	v_add_nc_u64_e32 v[18:19], 8, v[16:17]
                                        ; implicit-def: $vgpr14_vgpr15
	s_mov_b32 s0, exec_lo
	v_cmpx_gt_u32_e32 8, v7
	s_xor_b32 s11, exec_lo, s0
	s_cbranch_execz .LBB2_17
; %bb.12:                               ;   in Loop: Header=BB2_3 Depth=1
	v_mov_b64_e32 v[14:15], 0
	s_mov_b32 s12, exec_lo
	v_cmpx_ne_u32_e32 0, v7
	s_cbranch_execz .LBB2_16
; %bb.13:                               ;   in Loop: Header=BB2_3 Depth=1
	v_mov_b64_e32 v[14:15], 0
	s_mov_b64 s[0:1], 0
	s_mov_b32 s13, 0
	s_mov_b64 s[4:5], 0
.LBB2_14:                               ;   Parent Loop BB2_3 Depth=1
                                        ; =>  This Inner Loop Header: Depth=2
	s_delay_alu instid0(SALU_CYCLE_1) | instskip(SKIP_1) | instid1(SALU_CYCLE_1)
	v_add_nc_u64_e32 v[18:19], s[4:5], v[16:17]
	s_add_nc_u64 s[4:5], s[4:5], 1
	v_cmp_eq_u32_e32 vcc_lo, s4, v7
	flat_load_u8 v10, v[18:19]
	s_wait_xcnt 0x0
	v_mov_b32_e32 v19, s7
	s_or_b32 s13, vcc_lo, s13
	s_wait_loadcnt_dscnt 0x0
	v_and_b32_e32 v18, 0xffff, v10
	s_delay_alu instid0(VALU_DEP_1) | instskip(SKIP_1) | instid1(VALU_DEP_1)
	v_lshlrev_b64_e32 v[18:19], s0, v[18:19]
	s_add_nc_u64 s[0:1], s[0:1], 8
	v_or_b32_e32 v15, v19, v15
	s_delay_alu instid0(VALU_DEP_2)
	v_or_b32_e32 v14, v18, v14
	s_and_not1_b32 exec_lo, exec_lo, s13
	s_cbranch_execnz .LBB2_14
; %bb.15:                               ;   in Loop: Header=BB2_3 Depth=1
	s_or_b32 exec_lo, exec_lo, s13
.LBB2_16:                               ;   in Loop: Header=BB2_3 Depth=1
	s_delay_alu instid0(SALU_CYCLE_1)
	s_or_b32 exec_lo, exec_lo, s12
	v_mov_b64_e32 v[18:19], v[16:17]
                                        ; implicit-def: $vgpr7
.LBB2_17:                               ;   in Loop: Header=BB2_3 Depth=1
	s_or_saveexec_b32 s0, s11
	v_mov_b32_e32 v10, 0
	s_xor_b32 exec_lo, exec_lo, s0
	s_cbranch_execz .LBB2_19
; %bb.18:                               ;   in Loop: Header=BB2_3 Depth=1
	flat_load_b64 v[14:15], v[16:17]
	v_add_nc_u32_e32 v10, -8, v7
.LBB2_19:                               ;   in Loop: Header=BB2_3 Depth=1
	s_wait_xcnt 0x0
	s_or_b32 exec_lo, exec_lo, s0
	v_add_nc_u64_e32 v[20:21], 8, v[18:19]
	s_mov_b32 s0, exec_lo
	v_cmpx_gt_u32_e32 8, v10
	s_xor_b32 s11, exec_lo, s0
	s_cbranch_execz .LBB2_25
; %bb.20:                               ;   in Loop: Header=BB2_3 Depth=1
	v_mov_b64_e32 v[16:17], 0
	s_mov_b32 s12, exec_lo
	v_cmpx_ne_u32_e32 0, v10
	s_cbranch_execz .LBB2_24
; %bb.21:                               ;   in Loop: Header=BB2_3 Depth=1
	v_mov_b64_e32 v[16:17], 0
	s_mov_b64 s[0:1], 0
	s_mov_b32 s13, 0
	s_mov_b64 s[4:5], 0
.LBB2_22:                               ;   Parent Loop BB2_3 Depth=1
                                        ; =>  This Inner Loop Header: Depth=2
	s_delay_alu instid0(SALU_CYCLE_1) | instskip(SKIP_1) | instid1(SALU_CYCLE_1)
	v_add_nc_u64_e32 v[20:21], s[4:5], v[18:19]
	s_add_nc_u64 s[4:5], s[4:5], 1
	v_cmp_eq_u32_e32 vcc_lo, s4, v10
	flat_load_u8 v7, v[20:21]
	s_wait_xcnt 0x0
	v_mov_b32_e32 v21, s7
	s_or_b32 s13, vcc_lo, s13
	s_wait_loadcnt_dscnt 0x0
	v_and_b32_e32 v20, 0xffff, v7
	s_delay_alu instid0(VALU_DEP_1) | instskip(SKIP_1) | instid1(VALU_DEP_1)
	v_lshlrev_b64_e32 v[20:21], s0, v[20:21]
	s_add_nc_u64 s[0:1], s[0:1], 8
	v_or_b32_e32 v17, v21, v17
	s_delay_alu instid0(VALU_DEP_2)
	v_or_b32_e32 v16, v20, v16
	s_and_not1_b32 exec_lo, exec_lo, s13
	s_cbranch_execnz .LBB2_22
; %bb.23:                               ;   in Loop: Header=BB2_3 Depth=1
	s_or_b32 exec_lo, exec_lo, s13
.LBB2_24:                               ;   in Loop: Header=BB2_3 Depth=1
	s_delay_alu instid0(SALU_CYCLE_1)
	s_or_b32 exec_lo, exec_lo, s12
	v_mov_b64_e32 v[20:21], v[18:19]
                                        ; implicit-def: $vgpr10
.LBB2_25:                               ;   in Loop: Header=BB2_3 Depth=1
	s_or_saveexec_b32 s0, s11
	v_mov_b32_e32 v7, 0
	s_xor_b32 exec_lo, exec_lo, s0
	s_cbranch_execz .LBB2_27
; %bb.26:                               ;   in Loop: Header=BB2_3 Depth=1
	flat_load_b64 v[16:17], v[18:19]
	v_add_nc_u32_e32 v7, -8, v10
.LBB2_27:                               ;   in Loop: Header=BB2_3 Depth=1
	s_wait_xcnt 0x0
	s_or_b32 exec_lo, exec_lo, s0
	v_add_nc_u64_e32 v[22:23], 8, v[20:21]
                                        ; implicit-def: $vgpr18_vgpr19
	s_mov_b32 s0, exec_lo
	v_cmpx_gt_u32_e32 8, v7
	s_xor_b32 s11, exec_lo, s0
	s_cbranch_execz .LBB2_33
; %bb.28:                               ;   in Loop: Header=BB2_3 Depth=1
	v_mov_b64_e32 v[18:19], 0
	s_mov_b32 s12, exec_lo
	v_cmpx_ne_u32_e32 0, v7
	s_cbranch_execz .LBB2_32
; %bb.29:                               ;   in Loop: Header=BB2_3 Depth=1
	v_mov_b64_e32 v[18:19], 0
	s_mov_b64 s[0:1], 0
	s_mov_b32 s13, 0
	s_mov_b64 s[4:5], 0
.LBB2_30:                               ;   Parent Loop BB2_3 Depth=1
                                        ; =>  This Inner Loop Header: Depth=2
	s_delay_alu instid0(SALU_CYCLE_1) | instskip(SKIP_1) | instid1(SALU_CYCLE_1)
	v_add_nc_u64_e32 v[22:23], s[4:5], v[20:21]
	s_add_nc_u64 s[4:5], s[4:5], 1
	v_cmp_eq_u32_e32 vcc_lo, s4, v7
	flat_load_u8 v10, v[22:23]
	s_wait_xcnt 0x0
	v_mov_b32_e32 v23, s7
	s_or_b32 s13, vcc_lo, s13
	s_wait_loadcnt_dscnt 0x0
	v_and_b32_e32 v22, 0xffff, v10
	s_delay_alu instid0(VALU_DEP_1) | instskip(SKIP_1) | instid1(VALU_DEP_1)
	v_lshlrev_b64_e32 v[22:23], s0, v[22:23]
	s_add_nc_u64 s[0:1], s[0:1], 8
	v_or_b32_e32 v19, v23, v19
	s_delay_alu instid0(VALU_DEP_2)
	v_or_b32_e32 v18, v22, v18
	s_and_not1_b32 exec_lo, exec_lo, s13
	s_cbranch_execnz .LBB2_30
; %bb.31:                               ;   in Loop: Header=BB2_3 Depth=1
	s_or_b32 exec_lo, exec_lo, s13
.LBB2_32:                               ;   in Loop: Header=BB2_3 Depth=1
	s_delay_alu instid0(SALU_CYCLE_1)
	s_or_b32 exec_lo, exec_lo, s12
	v_mov_b64_e32 v[22:23], v[20:21]
                                        ; implicit-def: $vgpr7
.LBB2_33:                               ;   in Loop: Header=BB2_3 Depth=1
	s_or_saveexec_b32 s0, s11
	v_mov_b32_e32 v10, 0
	s_xor_b32 exec_lo, exec_lo, s0
	s_cbranch_execz .LBB2_35
; %bb.34:                               ;   in Loop: Header=BB2_3 Depth=1
	flat_load_b64 v[18:19], v[20:21]
	v_add_nc_u32_e32 v10, -8, v7
.LBB2_35:                               ;   in Loop: Header=BB2_3 Depth=1
	s_wait_xcnt 0x0
	s_or_b32 exec_lo, exec_lo, s0
	v_add_nc_u64_e32 v[24:25], 8, v[22:23]
	s_mov_b32 s0, exec_lo
	v_cmpx_gt_u32_e32 8, v10
	s_xor_b32 s11, exec_lo, s0
	s_cbranch_execz .LBB2_41
; %bb.36:                               ;   in Loop: Header=BB2_3 Depth=1
	v_mov_b64_e32 v[20:21], 0
	s_mov_b32 s12, exec_lo
	v_cmpx_ne_u32_e32 0, v10
	s_cbranch_execz .LBB2_40
; %bb.37:                               ;   in Loop: Header=BB2_3 Depth=1
	v_mov_b64_e32 v[20:21], 0
	s_mov_b64 s[0:1], 0
	s_mov_b32 s13, 0
	s_mov_b64 s[4:5], 0
.LBB2_38:                               ;   Parent Loop BB2_3 Depth=1
                                        ; =>  This Inner Loop Header: Depth=2
	s_delay_alu instid0(SALU_CYCLE_1) | instskip(SKIP_1) | instid1(SALU_CYCLE_1)
	v_add_nc_u64_e32 v[24:25], s[4:5], v[22:23]
	s_add_nc_u64 s[4:5], s[4:5], 1
	v_cmp_eq_u32_e32 vcc_lo, s4, v10
	flat_load_u8 v7, v[24:25]
	s_wait_xcnt 0x0
	v_mov_b32_e32 v25, s7
	s_or_b32 s13, vcc_lo, s13
	s_wait_loadcnt_dscnt 0x0
	v_and_b32_e32 v24, 0xffff, v7
	s_delay_alu instid0(VALU_DEP_1) | instskip(SKIP_1) | instid1(VALU_DEP_1)
	v_lshlrev_b64_e32 v[24:25], s0, v[24:25]
	s_add_nc_u64 s[0:1], s[0:1], 8
	v_or_b32_e32 v21, v25, v21
	s_delay_alu instid0(VALU_DEP_2)
	v_or_b32_e32 v20, v24, v20
	s_and_not1_b32 exec_lo, exec_lo, s13
	s_cbranch_execnz .LBB2_38
; %bb.39:                               ;   in Loop: Header=BB2_3 Depth=1
	s_or_b32 exec_lo, exec_lo, s13
.LBB2_40:                               ;   in Loop: Header=BB2_3 Depth=1
	s_delay_alu instid0(SALU_CYCLE_1)
	s_or_b32 exec_lo, exec_lo, s12
	v_mov_b64_e32 v[24:25], v[22:23]
                                        ; implicit-def: $vgpr10
.LBB2_41:                               ;   in Loop: Header=BB2_3 Depth=1
	s_or_saveexec_b32 s0, s11
	v_mov_b32_e32 v7, 0
	s_xor_b32 exec_lo, exec_lo, s0
	s_cbranch_execz .LBB2_43
; %bb.42:                               ;   in Loop: Header=BB2_3 Depth=1
	flat_load_b64 v[20:21], v[22:23]
	v_add_nc_u32_e32 v7, -8, v10
.LBB2_43:                               ;   in Loop: Header=BB2_3 Depth=1
	s_wait_xcnt 0x0
	s_or_b32 exec_lo, exec_lo, s0
	v_add_nc_u64_e32 v[26:27], 8, v[24:25]
                                        ; implicit-def: $vgpr22_vgpr23
	s_mov_b32 s0, exec_lo
	v_cmpx_gt_u32_e32 8, v7
	s_xor_b32 s11, exec_lo, s0
	s_cbranch_execz .LBB2_49
; %bb.44:                               ;   in Loop: Header=BB2_3 Depth=1
	v_mov_b64_e32 v[22:23], 0
	s_mov_b32 s12, exec_lo
	v_cmpx_ne_u32_e32 0, v7
	s_cbranch_execz .LBB2_48
; %bb.45:                               ;   in Loop: Header=BB2_3 Depth=1
	v_mov_b64_e32 v[22:23], 0
	s_mov_b64 s[0:1], 0
	s_mov_b32 s13, 0
	s_mov_b64 s[4:5], 0
.LBB2_46:                               ;   Parent Loop BB2_3 Depth=1
                                        ; =>  This Inner Loop Header: Depth=2
	s_delay_alu instid0(SALU_CYCLE_1) | instskip(SKIP_1) | instid1(SALU_CYCLE_1)
	v_add_nc_u64_e32 v[26:27], s[4:5], v[24:25]
	s_add_nc_u64 s[4:5], s[4:5], 1
	v_cmp_eq_u32_e32 vcc_lo, s4, v7
	flat_load_u8 v10, v[26:27]
	s_wait_xcnt 0x0
	v_mov_b32_e32 v27, s7
	s_or_b32 s13, vcc_lo, s13
	s_wait_loadcnt_dscnt 0x0
	v_and_b32_e32 v26, 0xffff, v10
	s_delay_alu instid0(VALU_DEP_1) | instskip(SKIP_1) | instid1(VALU_DEP_1)
	v_lshlrev_b64_e32 v[26:27], s0, v[26:27]
	s_add_nc_u64 s[0:1], s[0:1], 8
	v_or_b32_e32 v23, v27, v23
	s_delay_alu instid0(VALU_DEP_2)
	v_or_b32_e32 v22, v26, v22
	s_and_not1_b32 exec_lo, exec_lo, s13
	s_cbranch_execnz .LBB2_46
; %bb.47:                               ;   in Loop: Header=BB2_3 Depth=1
	s_or_b32 exec_lo, exec_lo, s13
.LBB2_48:                               ;   in Loop: Header=BB2_3 Depth=1
	s_delay_alu instid0(SALU_CYCLE_1)
	s_or_b32 exec_lo, exec_lo, s12
	v_mov_b64_e32 v[26:27], v[24:25]
                                        ; implicit-def: $vgpr7
.LBB2_49:                               ;   in Loop: Header=BB2_3 Depth=1
	s_or_saveexec_b32 s0, s11
	v_mov_b32_e32 v10, 0
	s_xor_b32 exec_lo, exec_lo, s0
	s_cbranch_execz .LBB2_51
; %bb.50:                               ;   in Loop: Header=BB2_3 Depth=1
	flat_load_b64 v[22:23], v[24:25]
	v_add_nc_u32_e32 v10, -8, v7
.LBB2_51:                               ;   in Loop: Header=BB2_3 Depth=1
	s_wait_xcnt 0x0
	s_or_b32 exec_lo, exec_lo, s0
	s_delay_alu instid0(SALU_CYCLE_1) | instskip(NEXT) | instid1(VALU_DEP_1)
	s_mov_b32 s0, exec_lo
	v_cmpx_gt_u32_e32 8, v10
	s_xor_b32 s4, exec_lo, s0
	s_cbranch_execz .LBB2_57
; %bb.52:                               ;   in Loop: Header=BB2_3 Depth=1
	v_mov_b64_e32 v[24:25], 0
	s_mov_b32 s5, exec_lo
	v_cmpx_ne_u32_e32 0, v10
	s_cbranch_execz .LBB2_56
; %bb.53:                               ;   in Loop: Header=BB2_3 Depth=1
	v_mov_b64_e32 v[24:25], 0
	s_mov_b64 s[0:1], 0
	s_mov_b32 s11, 0
.LBB2_54:                               ;   Parent Loop BB2_3 Depth=1
                                        ; =>  This Inner Loop Header: Depth=2
	flat_load_u8 v7, v[26:27]
	v_dual_mov_b32 v29, s7 :: v_dual_add_nc_u32 v10, -1, v10
	s_wait_xcnt 0x0
	v_add_nc_u64_e32 v[26:27], 1, v[26:27]
	s_delay_alu instid0(VALU_DEP_2) | instskip(SKIP_3) | instid1(VALU_DEP_1)
	v_cmp_eq_u32_e32 vcc_lo, 0, v10
	s_or_b32 s11, vcc_lo, s11
	s_wait_loadcnt_dscnt 0x0
	v_and_b32_e32 v28, 0xffff, v7
	v_lshlrev_b64_e32 v[28:29], s0, v[28:29]
	s_add_nc_u64 s[0:1], s[0:1], 8
	s_delay_alu instid0(VALU_DEP_1) | instskip(NEXT) | instid1(VALU_DEP_2)
	v_or_b32_e32 v25, v29, v25
	v_or_b32_e32 v24, v28, v24
	s_and_not1_b32 exec_lo, exec_lo, s11
	s_cbranch_execnz .LBB2_54
; %bb.55:                               ;   in Loop: Header=BB2_3 Depth=1
	s_or_b32 exec_lo, exec_lo, s11
.LBB2_56:                               ;   in Loop: Header=BB2_3 Depth=1
	s_delay_alu instid0(SALU_CYCLE_1)
	s_or_b32 exec_lo, exec_lo, s5
                                        ; implicit-def: $vgpr26_vgpr27
.LBB2_57:                               ;   in Loop: Header=BB2_3 Depth=1
	s_and_not1_saveexec_b32 s0, s4
	s_cbranch_execz .LBB2_59
; %bb.58:                               ;   in Loop: Header=BB2_3 Depth=1
	flat_load_b64 v[24:25], v[26:27]
.LBB2_59:                               ;   in Loop: Header=BB2_3 Depth=1
	s_wait_xcnt 0x0
	s_or_b32 exec_lo, exec_lo, s0
	v_readfirstlane_b32 s0, v30
	v_mov_b64_e32 v[34:35], 0
	s_delay_alu instid0(VALU_DEP_2)
	v_cmp_eq_u32_e64 s0, s0, v30
	s_and_saveexec_b32 s1, s0
	s_cbranch_execz .LBB2_65
; %bb.60:                               ;   in Loop: Header=BB2_3 Depth=1
	s_wait_kmcnt 0x0
	global_load_b64 v[28:29], v11, s[2:3] offset:24 scope:SCOPE_SYS
	s_wait_loadcnt 0x0
	global_inv scope:SCOPE_SYS
	s_clause 0x1
	global_load_b64 v[26:27], v11, s[2:3] offset:40
	global_load_b64 v[34:35], v11, s[2:3]
	s_mov_b32 s4, exec_lo
	s_wait_loadcnt 0x1
	v_and_b32_e32 v26, v26, v28
	v_and_b32_e32 v27, v27, v29
	s_delay_alu instid0(VALU_DEP_1) | instskip(SKIP_1) | instid1(VALU_DEP_1)
	v_mul_u64_e32 v[26:27], 24, v[26:27]
	s_wait_loadcnt 0x0
	v_add_nc_u64_e32 v[26:27], v[34:35], v[26:27]
	global_load_b64 v[26:27], v[26:27], off scope:SCOPE_SYS
	s_wait_xcnt 0x0
	s_wait_loadcnt 0x0
	global_atomic_cmpswap_b64 v[34:35], v11, v[26:29], s[2:3] offset:24 th:TH_ATOMIC_RETURN scope:SCOPE_SYS
	s_wait_loadcnt 0x0
	global_inv scope:SCOPE_SYS
	s_wait_xcnt 0x0
	v_cmpx_ne_u64_e64 v[34:35], v[28:29]
	s_cbranch_execz .LBB2_64
; %bb.61:                               ;   in Loop: Header=BB2_3 Depth=1
	s_mov_b32 s5, 0
.LBB2_62:                               ;   Parent Loop BB2_3 Depth=1
                                        ; =>  This Inner Loop Header: Depth=2
	s_sleep 1
	s_clause 0x1
	global_load_b64 v[26:27], v11, s[2:3] offset:40
	global_load_b64 v[36:37], v11, s[2:3]
	v_mov_b64_e32 v[28:29], v[34:35]
	s_wait_loadcnt 0x1
	s_delay_alu instid0(VALU_DEP_1) | instskip(SKIP_1) | instid1(VALU_DEP_1)
	v_and_b32_e32 v7, v26, v28
	s_wait_loadcnt 0x0
	v_mad_nc_u64_u32 v[34:35], v7, 24, v[36:37]
	s_delay_alu instid0(VALU_DEP_3) | instskip(NEXT) | instid1(VALU_DEP_1)
	v_and_b32_e32 v7, v27, v29
	v_mad_u32 v35, v7, 24, v35
	global_load_b64 v[26:27], v[34:35], off scope:SCOPE_SYS
	s_wait_xcnt 0x0
	s_wait_loadcnt 0x0
	global_atomic_cmpswap_b64 v[34:35], v11, v[26:29], s[2:3] offset:24 th:TH_ATOMIC_RETURN scope:SCOPE_SYS
	s_wait_loadcnt 0x0
	global_inv scope:SCOPE_SYS
	v_cmp_eq_u64_e32 vcc_lo, v[34:35], v[28:29]
	s_or_b32 s5, vcc_lo, s5
	s_wait_xcnt 0x0
	s_and_not1_b32 exec_lo, exec_lo, s5
	s_cbranch_execnz .LBB2_62
; %bb.63:                               ;   in Loop: Header=BB2_3 Depth=1
	s_or_b32 exec_lo, exec_lo, s5
.LBB2_64:                               ;   in Loop: Header=BB2_3 Depth=1
	s_delay_alu instid0(SALU_CYCLE_1)
	s_or_b32 exec_lo, exec_lo, s4
.LBB2_65:                               ;   in Loop: Header=BB2_3 Depth=1
	s_delay_alu instid0(SALU_CYCLE_1)
	s_or_b32 exec_lo, exec_lo, s1
	s_wait_kmcnt 0x0
	s_clause 0x1
	global_load_b64 v[36:37], v11, s[2:3] offset:40
	global_load_b128 v[26:29], v11, s[2:3]
	v_readfirstlane_b32 s4, v34
	v_readfirstlane_b32 s5, v35
	s_mov_b32 s1, exec_lo
	s_wait_loadcnt 0x1
	v_and_b32_e32 v36, s4, v36
	v_and_b32_e32 v37, s5, v37
	s_delay_alu instid0(VALU_DEP_1) | instskip(SKIP_1) | instid1(VALU_DEP_1)
	v_mul_u64_e32 v[34:35], 24, v[36:37]
	s_wait_loadcnt 0x0
	v_add_nc_u64_e32 v[34:35], v[26:27], v[34:35]
	s_wait_xcnt 0x0
	s_and_saveexec_b32 s11, s0
	s_cbranch_execz .LBB2_67
; %bb.66:                               ;   in Loop: Header=BB2_3 Depth=1
	v_mov_b32_e32 v10, s1
	global_store_b128 v[34:35], v[10:13], off offset:8
.LBB2_67:                               ;   in Loop: Header=BB2_3 Depth=1
	s_wait_xcnt 0x0
	s_or_b32 exec_lo, exec_lo, s11
	v_cmp_gt_u64_e32 vcc_lo, 57, v[4:5]
	v_lshlrev_b64_e32 v[36:37], 12, v[36:37]
	v_and_b32_e32 v0, 0xffffff1f, v0
	v_lshl_add_u32 v31, v32, 2, 28
	v_lshlrev_b32_e32 v10, 6, v30
	v_cndmask_b32_e32 v7, 0, v6, vcc_lo
	v_add_nc_u64_e32 v[28:29], v[28:29], v[36:37]
	s_delay_alu instid0(VALU_DEP_2) | instskip(NEXT) | instid1(VALU_DEP_2)
	v_or_b32_e32 v0, v0, v7
	v_readfirstlane_b32 s12, v28
	s_delay_alu instid0(VALU_DEP_3) | instskip(NEXT) | instid1(VALU_DEP_3)
	v_readfirstlane_b32 s13, v29
	v_and_or_b32 v0, 0x1e0, v31, v0
	s_wait_dscnt 0x0
	s_clause 0x3
	global_store_b128 v10, v[0:3], s[12:13]
	global_store_b128 v10, v[14:17], s[12:13] offset:16
	global_store_b128 v10, v[18:21], s[12:13] offset:32
	;; [unrolled: 1-line block ×3, first 2 shown]
	s_wait_xcnt 0x0
	s_and_saveexec_b32 s1, s0
	s_cbranch_execz .LBB2_75
; %bb.68:                               ;   in Loop: Header=BB2_3 Depth=1
	s_clause 0x1
	global_load_b64 v[18:19], v11, s[2:3] offset:32 scope:SCOPE_SYS
	global_load_b64 v[0:1], v11, s[2:3] offset:40
	s_mov_b32 s11, exec_lo
	v_dual_mov_b32 v16, s4 :: v_dual_mov_b32 v17, s5
	s_wait_loadcnt 0x0
	v_and_b32_e32 v1, s5, v1
	v_and_b32_e32 v0, s4, v0
	s_delay_alu instid0(VALU_DEP_1) | instskip(NEXT) | instid1(VALU_DEP_1)
	v_mul_u64_e32 v[0:1], 24, v[0:1]
	v_add_nc_u64_e32 v[14:15], v[26:27], v[0:1]
	global_store_b64 v[14:15], v[18:19], off
	global_wb scope:SCOPE_SYS
	s_wait_storecnt 0x0
	s_wait_xcnt 0x0
	global_atomic_cmpswap_b64 v[2:3], v11, v[16:19], s[2:3] offset:32 th:TH_ATOMIC_RETURN scope:SCOPE_SYS
	s_wait_loadcnt 0x0
	v_cmpx_ne_u64_e64 v[2:3], v[18:19]
	s_cbranch_execz .LBB2_71
; %bb.69:                               ;   in Loop: Header=BB2_3 Depth=1
	s_mov_b32 s12, 0
.LBB2_70:                               ;   Parent Loop BB2_3 Depth=1
                                        ; =>  This Inner Loop Header: Depth=2
	v_dual_mov_b32 v0, s4 :: v_dual_mov_b32 v1, s5
	s_sleep 1
	global_store_b64 v[14:15], v[2:3], off
	global_wb scope:SCOPE_SYS
	s_wait_storecnt 0x0
	s_wait_xcnt 0x0
	global_atomic_cmpswap_b64 v[0:1], v11, v[0:3], s[2:3] offset:32 th:TH_ATOMIC_RETURN scope:SCOPE_SYS
	s_wait_loadcnt 0x0
	v_cmp_eq_u64_e32 vcc_lo, v[0:1], v[2:3]
	v_mov_b64_e32 v[2:3], v[0:1]
	s_or_b32 s12, vcc_lo, s12
	s_delay_alu instid0(SALU_CYCLE_1)
	s_and_not1_b32 exec_lo, exec_lo, s12
	s_cbranch_execnz .LBB2_70
.LBB2_71:                               ;   in Loop: Header=BB2_3 Depth=1
	s_or_b32 exec_lo, exec_lo, s11
	global_load_b64 v[0:1], v11, s[2:3] offset:16
	s_mov_b32 s12, exec_lo
	s_mov_b32 s11, exec_lo
	v_mbcnt_lo_u32_b32 v2, s12, 0
	s_wait_xcnt 0x0
	s_delay_alu instid0(VALU_DEP_1)
	v_cmpx_eq_u32_e32 0, v2
	s_cbranch_execz .LBB2_73
; %bb.72:                               ;   in Loop: Header=BB2_3 Depth=1
	s_bcnt1_i32_b32 s12, s12
	s_delay_alu instid0(SALU_CYCLE_1)
	v_dual_mov_b32 v3, v11 :: v_dual_mov_b32 v2, s12
	global_wb scope:SCOPE_SYS
	s_wait_loadcnt 0x0
	s_wait_storecnt 0x0
	global_atomic_add_u64 v[0:1], v[2:3], off offset:8 scope:SCOPE_SYS
.LBB2_73:                               ;   in Loop: Header=BB2_3 Depth=1
	s_wait_xcnt 0x0
	s_or_b32 exec_lo, exec_lo, s11
	s_wait_loadcnt 0x0
	global_load_b64 v[2:3], v[0:1], off offset:16
	s_wait_loadcnt 0x0
	v_cmp_eq_u64_e32 vcc_lo, 0, v[2:3]
	s_cbranch_vccnz .LBB2_75
; %bb.74:                               ;   in Loop: Header=BB2_3 Depth=1
	global_load_b32 v0, v[0:1], off offset:24
	s_wait_xcnt 0x0
	v_mov_b32_e32 v1, v11
	s_wait_loadcnt 0x0
	v_readfirstlane_b32 s11, v0
	global_wb scope:SCOPE_SYS
	s_wait_storecnt 0x0
	global_store_b64 v[2:3], v[0:1], off scope:SCOPE_SYS
	s_and_b32 m0, s11, 0xffffff
	s_sendmsg sendmsg(MSG_INTERRUPT)
.LBB2_75:                               ;   in Loop: Header=BB2_3 Depth=1
	s_wait_xcnt 0x0
	s_or_b32 exec_lo, exec_lo, s1
	v_add_nc_u64_e32 v[0:1], v[28:29], v[10:11]
	s_branch .LBB2_79
.LBB2_76:                               ;   in Loop: Header=BB2_79 Depth=2
	s_wait_xcnt 0x0
	s_or_b32 exec_lo, exec_lo, s1
	s_delay_alu instid0(VALU_DEP_1)
	v_readfirstlane_b32 s1, v2
	s_cmp_eq_u32 s1, 0
	s_cbranch_scc1 .LBB2_78
; %bb.77:                               ;   in Loop: Header=BB2_79 Depth=2
	s_sleep 1
	s_cbranch_execnz .LBB2_79
	s_branch .LBB2_81
.LBB2_78:                               ;   in Loop: Header=BB2_3 Depth=1
	s_branch .LBB2_81
.LBB2_79:                               ;   Parent Loop BB2_3 Depth=1
                                        ; =>  This Inner Loop Header: Depth=2
	v_mov_b32_e32 v2, 1
	s_and_saveexec_b32 s1, s0
	s_cbranch_execz .LBB2_76
; %bb.80:                               ;   in Loop: Header=BB2_79 Depth=2
	global_load_b32 v2, v[34:35], off offset:20 scope:SCOPE_SYS
	s_wait_loadcnt 0x0
	global_inv scope:SCOPE_SYS
	v_and_b32_e32 v2, 1, v2
	s_branch .LBB2_76
.LBB2_81:                               ;   in Loop: Header=BB2_3 Depth=1
	global_load_b64 v[0:1], v[0:1], off
	s_wait_xcnt 0x0
	s_and_saveexec_b32 s11, s0
	s_cbranch_execz .LBB2_2
; %bb.82:                               ;   in Loop: Header=BB2_3 Depth=1
	s_clause 0x2
	global_load_b64 v[2:3], v11, s[2:3] offset:40
	global_load_b64 v[18:19], v11, s[2:3] offset:24 scope:SCOPE_SYS
	global_load_b64 v[14:15], v11, s[2:3]
	s_wait_loadcnt 0x2
	v_readfirstlane_b32 s12, v2
	v_readfirstlane_b32 s13, v3
	s_add_nc_u64 s[0:1], s[12:13], 1
	s_delay_alu instid0(SALU_CYCLE_1) | instskip(NEXT) | instid1(SALU_CYCLE_1)
	s_add_nc_u64 s[4:5], s[0:1], s[4:5]
	s_cmp_eq_u64 s[4:5], 0
	s_cselect_b32 s1, s1, s5
	s_cselect_b32 s0, s0, s4
	s_delay_alu instid0(SALU_CYCLE_1) | instskip(SKIP_1) | instid1(SALU_CYCLE_1)
	v_dual_mov_b32 v17, s1 :: v_dual_mov_b32 v16, s0
	s_and_b64 s[4:5], s[0:1], s[12:13]
	s_mul_u64 s[4:5], s[4:5], 24
	s_wait_loadcnt 0x0
	v_add_nc_u64_e32 v[2:3], s[4:5], v[14:15]
	global_store_b64 v[2:3], v[18:19], off
	global_wb scope:SCOPE_SYS
	s_wait_storecnt 0x0
	s_wait_xcnt 0x0
	global_atomic_cmpswap_b64 v[16:17], v11, v[16:19], s[2:3] offset:24 th:TH_ATOMIC_RETURN scope:SCOPE_SYS
	s_wait_loadcnt 0x0
	v_cmp_ne_u64_e32 vcc_lo, v[16:17], v[18:19]
	s_and_b32 exec_lo, exec_lo, vcc_lo
	s_cbranch_execz .LBB2_2
; %bb.83:                               ;   in Loop: Header=BB2_3 Depth=1
	s_mov_b32 s4, 0
.LBB2_84:                               ;   Parent Loop BB2_3 Depth=1
                                        ; =>  This Inner Loop Header: Depth=2
	v_dual_mov_b32 v14, s0 :: v_dual_mov_b32 v15, s1
	s_sleep 1
	global_store_b64 v[2:3], v[16:17], off
	global_wb scope:SCOPE_SYS
	s_wait_storecnt 0x0
	s_wait_xcnt 0x0
	global_atomic_cmpswap_b64 v[14:15], v11, v[14:17], s[2:3] offset:24 th:TH_ATOMIC_RETURN scope:SCOPE_SYS
	s_wait_loadcnt 0x0
	v_cmp_eq_u64_e32 vcc_lo, v[14:15], v[16:17]
	v_mov_b64_e32 v[16:17], v[14:15]
	s_or_b32 s4, vcc_lo, s4
	s_delay_alu instid0(SALU_CYCLE_1)
	s_and_not1_b32 exec_lo, exec_lo, s4
	s_cbranch_execnz .LBB2_84
	s_branch .LBB2_2
.LBB2_85:
	s_or_b32 exec_lo, exec_lo, s10
                                        ; implicit-def: $vgpr14
                                        ; implicit-def: $vgpr30
.LBB2_86:
	s_and_not1_saveexec_b32 s6, s6
	s_cbranch_execz .LBB2_108
; %bb.87:
	s_load_b64 s[2:3], s[8:9], 0x50
	v_readfirstlane_b32 s0, v30
	v_mov_b64_e32 v[2:3], 0
	s_delay_alu instid0(VALU_DEP_2)
	v_cmp_eq_u32_e64 s0, s0, v30
	s_and_saveexec_b32 s1, s0
	s_cbranch_execz .LBB2_93
; %bb.88:
	s_wait_loadcnt 0x0
	v_mov_b32_e32 v0, 0
	s_mov_b32 s4, exec_lo
	s_wait_kmcnt 0x0
	global_load_b64 v[4:5], v0, s[2:3] offset:24 scope:SCOPE_SYS
	s_wait_loadcnt 0x0
	global_inv scope:SCOPE_SYS
	s_clause 0x1
	global_load_b64 v[2:3], v0, s[2:3] offset:40
	global_load_b64 v[6:7], v0, s[2:3]
	s_wait_loadcnt 0x1
	v_and_b32_e32 v2, v2, v4
	v_and_b32_e32 v3, v3, v5
	s_delay_alu instid0(VALU_DEP_1) | instskip(SKIP_1) | instid1(VALU_DEP_1)
	v_mul_u64_e32 v[2:3], 24, v[2:3]
	s_wait_loadcnt 0x0
	v_add_nc_u64_e32 v[2:3], v[6:7], v[2:3]
	global_load_b64 v[2:3], v[2:3], off scope:SCOPE_SYS
	s_wait_xcnt 0x0
	s_wait_loadcnt 0x0
	global_atomic_cmpswap_b64 v[2:3], v0, v[2:5], s[2:3] offset:24 th:TH_ATOMIC_RETURN scope:SCOPE_SYS
	s_wait_loadcnt 0x0
	global_inv scope:SCOPE_SYS
	s_wait_xcnt 0x0
	v_cmpx_ne_u64_e64 v[2:3], v[4:5]
	s_cbranch_execz .LBB2_92
; %bb.89:
	s_mov_b32 s5, 0
.LBB2_90:                               ; =>This Inner Loop Header: Depth=1
	s_sleep 1
	s_clause 0x1
	global_load_b64 v[6:7], v0, s[2:3] offset:40
	global_load_b64 v[8:9], v0, s[2:3]
	v_mov_b64_e32 v[4:5], v[2:3]
	s_wait_loadcnt 0x1
	s_delay_alu instid0(VALU_DEP_1) | instskip(NEXT) | instid1(VALU_DEP_2)
	v_and_b32_e32 v2, v6, v4
	v_and_b32_e32 v6, v7, v5
	s_wait_loadcnt 0x0
	s_delay_alu instid0(VALU_DEP_2) | instskip(NEXT) | instid1(VALU_DEP_1)
	v_mad_nc_u64_u32 v[2:3], v2, 24, v[8:9]
	v_mad_u32 v3, v6, 24, v3
	global_load_b64 v[2:3], v[2:3], off scope:SCOPE_SYS
	s_wait_xcnt 0x0
	s_wait_loadcnt 0x0
	global_atomic_cmpswap_b64 v[2:3], v0, v[2:5], s[2:3] offset:24 th:TH_ATOMIC_RETURN scope:SCOPE_SYS
	s_wait_loadcnt 0x0
	global_inv scope:SCOPE_SYS
	v_cmp_eq_u64_e32 vcc_lo, v[2:3], v[4:5]
	s_or_b32 s5, vcc_lo, s5
	s_wait_xcnt 0x0
	s_and_not1_b32 exec_lo, exec_lo, s5
	s_cbranch_execnz .LBB2_90
; %bb.91:
	s_or_b32 exec_lo, exec_lo, s5
.LBB2_92:
	s_delay_alu instid0(SALU_CYCLE_1)
	s_or_b32 exec_lo, exec_lo, s4
.LBB2_93:
	s_delay_alu instid0(SALU_CYCLE_1)
	s_or_b32 exec_lo, exec_lo, s1
	v_readfirstlane_b32 s4, v2
	v_mov_b32_e32 v5, 0
	v_readfirstlane_b32 s5, v3
	s_mov_b32 s1, exec_lo
	s_wait_kmcnt 0x0
	s_clause 0x1
	global_load_b64 v[6:7], v5, s[2:3] offset:40
	global_load_b128 v[8:11], v5, s[2:3]
	s_wait_loadcnt 0x1
	v_and_b32_e32 v2, s4, v6
	v_and_b32_e32 v3, s5, v7
	s_delay_alu instid0(VALU_DEP_1) | instskip(SKIP_1) | instid1(VALU_DEP_1)
	v_mul_u64_e32 v[6:7], 24, v[2:3]
	s_wait_loadcnt 0x0
	v_add_nc_u64_e32 v[12:13], v[8:9], v[6:7]
	s_wait_xcnt 0x0
	s_and_saveexec_b32 s7, s0
	s_cbranch_execz .LBB2_95
; %bb.94:
	v_mov_b64_e32 v[6:7], 0x100000002
	v_mov_b32_e32 v4, s1
	global_store_b128 v[12:13], v[4:7], off offset:8
.LBB2_95:
	s_wait_xcnt 0x0
	s_or_b32 exec_lo, exec_lo, s7
	v_lshlrev_b64_e32 v[2:3], 12, v[2:3]
	s_mov_b32 s8, 0
	v_and_or_b32 v0, 0xffffff1f, v14, 32
	s_mov_b32 s10, s8
	s_mov_b32 s11, s8
	s_mov_b32 s9, s8
	v_mov_b64_e32 v[16:17], s[10:11]
	v_add_nc_u64_e32 v[6:7], v[10:11], v[2:3]
	v_mov_b64_e32 v[14:15], s[8:9]
	v_dual_lshlrev_b32 v4, 6, v30 :: v_dual_mov_b32 v2, v5
	v_mov_b32_e32 v3, v5
	s_delay_alu instid0(VALU_DEP_4)
	v_readfirstlane_b32 s12, v6
	v_readfirstlane_b32 s13, v7
	s_clause 0x3
	global_store_b128 v4, v[0:3], s[12:13]
	global_store_b128 v4, v[14:17], s[12:13] offset:16
	global_store_b128 v4, v[14:17], s[12:13] offset:32
	;; [unrolled: 1-line block ×3, first 2 shown]
	s_wait_xcnt 0x0
	s_and_saveexec_b32 s1, s0
	s_cbranch_execz .LBB2_102
; %bb.96:
	v_dual_mov_b32 v10, 0 :: v_dual_mov_b32 v15, s5
	s_mov_b32 s7, exec_lo
	s_clause 0x1
	global_load_b64 v[16:17], v10, s[2:3] offset:32 scope:SCOPE_SYS
	global_load_b64 v[0:1], v10, s[2:3] offset:40
	s_wait_loadcnt 0x0
	v_dual_mov_b32 v14, s4 :: v_dual_bitop2_b32 v1, s5, v1 bitop3:0x40
	v_and_b32_e32 v0, s4, v0
	s_delay_alu instid0(VALU_DEP_1) | instskip(NEXT) | instid1(VALU_DEP_1)
	v_mul_u64_e32 v[0:1], 24, v[0:1]
	v_add_nc_u64_e32 v[8:9], v[8:9], v[0:1]
	global_store_b64 v[8:9], v[16:17], off
	global_wb scope:SCOPE_SYS
	s_wait_storecnt 0x0
	s_wait_xcnt 0x0
	global_atomic_cmpswap_b64 v[2:3], v10, v[14:17], s[2:3] offset:32 th:TH_ATOMIC_RETURN scope:SCOPE_SYS
	s_wait_loadcnt 0x0
	v_cmpx_ne_u64_e64 v[2:3], v[16:17]
	s_cbranch_execz .LBB2_98
.LBB2_97:                               ; =>This Inner Loop Header: Depth=1
	v_dual_mov_b32 v0, s4 :: v_dual_mov_b32 v1, s5
	s_sleep 1
	global_store_b64 v[8:9], v[2:3], off
	global_wb scope:SCOPE_SYS
	s_wait_storecnt 0x0
	s_wait_xcnt 0x0
	global_atomic_cmpswap_b64 v[0:1], v10, v[0:3], s[2:3] offset:32 th:TH_ATOMIC_RETURN scope:SCOPE_SYS
	s_wait_loadcnt 0x0
	v_cmp_eq_u64_e32 vcc_lo, v[0:1], v[2:3]
	v_mov_b64_e32 v[2:3], v[0:1]
	s_or_b32 s8, vcc_lo, s8
	s_delay_alu instid0(SALU_CYCLE_1)
	s_and_not1_b32 exec_lo, exec_lo, s8
	s_cbranch_execnz .LBB2_97
.LBB2_98:
	s_or_b32 exec_lo, exec_lo, s7
	v_mov_b32_e32 v3, 0
	s_mov_b32 s8, exec_lo
	s_mov_b32 s7, exec_lo
	v_mbcnt_lo_u32_b32 v2, s8, 0
	global_load_b64 v[0:1], v3, s[2:3] offset:16
	s_wait_xcnt 0x0
	v_cmpx_eq_u32_e32 0, v2
	s_cbranch_execz .LBB2_100
; %bb.99:
	s_bcnt1_i32_b32 s8, s8
	s_delay_alu instid0(SALU_CYCLE_1)
	v_mov_b32_e32 v2, s8
	global_wb scope:SCOPE_SYS
	s_wait_loadcnt 0x0
	s_wait_storecnt 0x0
	global_atomic_add_u64 v[0:1], v[2:3], off offset:8 scope:SCOPE_SYS
.LBB2_100:
	s_wait_xcnt 0x0
	s_or_b32 exec_lo, exec_lo, s7
	s_wait_loadcnt 0x0
	global_load_b64 v[2:3], v[0:1], off offset:16
	s_wait_loadcnt 0x0
	v_cmp_eq_u64_e32 vcc_lo, 0, v[2:3]
	s_cbranch_vccnz .LBB2_102
; %bb.101:
	global_load_b32 v0, v[0:1], off offset:24
	s_wait_xcnt 0x0
	v_mov_b32_e32 v1, 0
	s_wait_loadcnt 0x0
	v_readfirstlane_b32 s7, v0
	global_wb scope:SCOPE_SYS
	s_wait_storecnt 0x0
	global_store_b64 v[2:3], v[0:1], off scope:SCOPE_SYS
	s_and_b32 m0, s7, 0xffffff
	s_sendmsg sendmsg(MSG_INTERRUPT)
.LBB2_102:
	s_wait_xcnt 0x0
	s_or_b32 exec_lo, exec_lo, s1
	v_add_nc_u64_e32 v[0:1], v[6:7], v[4:5]
	s_branch .LBB2_106
.LBB2_103:                              ;   in Loop: Header=BB2_106 Depth=1
	s_wait_xcnt 0x0
	s_or_b32 exec_lo, exec_lo, s1
	s_delay_alu instid0(VALU_DEP_1)
	v_readfirstlane_b32 s1, v2
	s_cmp_eq_u32 s1, 0
	s_cbranch_scc1 .LBB2_105
; %bb.104:                              ;   in Loop: Header=BB2_106 Depth=1
	s_sleep 1
	s_cbranch_execnz .LBB2_106
	s_branch .LBB2_109
.LBB2_105:
	s_branch .LBB2_109
.LBB2_106:                              ; =>This Inner Loop Header: Depth=1
	v_mov_b32_e32 v2, 1
	s_and_saveexec_b32 s1, s0
	s_cbranch_execz .LBB2_103
; %bb.107:                              ;   in Loop: Header=BB2_106 Depth=1
	global_load_b32 v2, v[12:13], off offset:20 scope:SCOPE_SYS
	s_wait_loadcnt 0x0
	global_inv scope:SCOPE_SYS
	v_and_b32_e32 v2, 1, v2
	s_branch .LBB2_103
.LBB2_108:
	s_or_b32 exec_lo, exec_lo, s6
	s_wait_loadcnt 0x0
	s_wait_kmcnt 0x0
	s_set_pc_i64 s[30:31]
.LBB2_109:
	global_load_b64 v[0:1], v[0:1], off
	s_wait_xcnt 0x0
	s_and_saveexec_b32 s7, s0
	s_cbranch_execz .LBB2_113
; %bb.110:
	v_mov_b32_e32 v8, 0
	s_clause 0x2
	global_load_b64 v[2:3], v8, s[2:3] offset:40
	global_load_b64 v[12:13], v8, s[2:3] offset:24 scope:SCOPE_SYS
	global_load_b64 v[4:5], v8, s[2:3]
	s_wait_loadcnt 0x2
	v_readfirstlane_b32 s8, v2
	v_readfirstlane_b32 s9, v3
	s_add_nc_u64 s[0:1], s[8:9], 1
	s_delay_alu instid0(SALU_CYCLE_1) | instskip(NEXT) | instid1(SALU_CYCLE_1)
	s_add_nc_u64 s[4:5], s[0:1], s[4:5]
	s_cmp_eq_u64 s[4:5], 0
	s_cselect_b32 s1, s1, s5
	s_cselect_b32 s0, s0, s4
	v_mov_b32_e32 v11, s1
	s_and_b64 s[4:5], s[0:1], s[8:9]
	v_mov_b32_e32 v10, s0
	s_mul_u64 s[4:5], s[4:5], 24
	s_wait_loadcnt 0x0
	v_add_nc_u64_e32 v[6:7], s[4:5], v[4:5]
	global_store_b64 v[6:7], v[12:13], off
	global_wb scope:SCOPE_SYS
	s_wait_storecnt 0x0
	s_wait_xcnt 0x0
	global_atomic_cmpswap_b64 v[4:5], v8, v[10:13], s[2:3] offset:24 th:TH_ATOMIC_RETURN scope:SCOPE_SYS
	s_wait_loadcnt 0x0
	v_cmp_ne_u64_e32 vcc_lo, v[4:5], v[12:13]
	s_and_b32 exec_lo, exec_lo, vcc_lo
	s_cbranch_execz .LBB2_113
; %bb.111:
	s_mov_b32 s4, 0
.LBB2_112:                              ; =>This Inner Loop Header: Depth=1
	v_dual_mov_b32 v2, s0 :: v_dual_mov_b32 v3, s1
	s_sleep 1
	global_store_b64 v[6:7], v[4:5], off
	global_wb scope:SCOPE_SYS
	s_wait_storecnt 0x0
	s_wait_xcnt 0x0
	global_atomic_cmpswap_b64 v[2:3], v8, v[2:5], s[2:3] offset:24 th:TH_ATOMIC_RETURN scope:SCOPE_SYS
	s_wait_loadcnt 0x0
	v_cmp_eq_u64_e32 vcc_lo, v[2:3], v[4:5]
	v_mov_b64_e32 v[4:5], v[2:3]
	s_or_b32 s4, vcc_lo, s4
	s_delay_alu instid0(SALU_CYCLE_1)
	s_and_not1_b32 exec_lo, exec_lo, s4
	s_cbranch_execnz .LBB2_112
.LBB2_113:
	s_or_b32 exec_lo, exec_lo, s7
	s_delay_alu instid0(SALU_CYCLE_1)
	s_or_b32 exec_lo, exec_lo, s6
	s_wait_loadcnt 0x0
	s_wait_kmcnt 0x0
	s_set_pc_i64 s[30:31]
.Lfunc_end2:
	.size	__ockl_printf_append_string_n, .Lfunc_end2-__ockl_printf_append_string_n
                                        ; -- End function
	.set .L__ockl_printf_append_string_n.num_vgpr, 38
	.set .L__ockl_printf_append_string_n.num_agpr, 0
	.set .L__ockl_printf_append_string_n.numbered_sgpr, 32
	.set .L__ockl_printf_append_string_n.num_named_barrier, 0
	.set .L__ockl_printf_append_string_n.private_seg_size, 0
	.set .L__ockl_printf_append_string_n.uses_vcc, 1
	.set .L__ockl_printf_append_string_n.uses_flat_scratch, 0
	.set .L__ockl_printf_append_string_n.has_dyn_sized_stack, 0
	.set .L__ockl_printf_append_string_n.has_recursion, 0
	.set .L__ockl_printf_append_string_n.has_indirect_call, 0
	.section	.AMDGPU.csdata,"",@progbits
; Function info:
; codeLenInByte = 4336
; TotalNumSgprs: 34
; NumVgprs: 38
; ScratchSize: 0
; MemoryBound: 0
	.text
	.p2align	2                               ; -- Begin function __ockl_printf_append_args
	.type	__ockl_printf_append_args,@function
__ockl_printf_append_args:              ; @__ockl_printf_append_args
; %bb.0:
	s_wait_loadcnt_dscnt 0x0
	s_wait_kmcnt 0x0
	s_load_b64 s[2:3], s[8:9], 0x50
	v_mbcnt_lo_u32_b32 v5, -1, 0
	v_mov_b64_e32 v[8:9], 0
	s_delay_alu instid0(VALU_DEP_2) | instskip(NEXT) | instid1(VALU_DEP_1)
	v_readfirstlane_b32 s0, v5
	v_cmp_eq_u32_e64 s0, s0, v5
	s_and_saveexec_b32 s1, s0
	s_cbranch_execz .LBB3_6
; %bb.1:
	v_mov_b32_e32 v6, 0
	s_mov_b32 s4, exec_lo
	s_wait_kmcnt 0x0
	global_load_b64 v[10:11], v6, s[2:3] offset:24 scope:SCOPE_SYS
	s_wait_loadcnt 0x0
	global_inv scope:SCOPE_SYS
	s_clause 0x1
	global_load_b64 v[8:9], v6, s[2:3] offset:40
	global_load_b64 v[12:13], v6, s[2:3]
	s_wait_loadcnt 0x1
	v_and_b32_e32 v8, v8, v10
	v_and_b32_e32 v9, v9, v11
	s_delay_alu instid0(VALU_DEP_1) | instskip(SKIP_1) | instid1(VALU_DEP_1)
	v_mul_u64_e32 v[8:9], 24, v[8:9]
	s_wait_loadcnt 0x0
	v_add_nc_u64_e32 v[8:9], v[12:13], v[8:9]
	global_load_b64 v[8:9], v[8:9], off scope:SCOPE_SYS
	s_wait_xcnt 0x0
	s_wait_loadcnt 0x0
	global_atomic_cmpswap_b64 v[8:9], v6, v[8:11], s[2:3] offset:24 th:TH_ATOMIC_RETURN scope:SCOPE_SYS
	s_wait_loadcnt 0x0
	global_inv scope:SCOPE_SYS
	s_wait_xcnt 0x0
	v_cmpx_ne_u64_e64 v[8:9], v[10:11]
	s_cbranch_execz .LBB3_5
; %bb.2:
	s_mov_b32 s5, 0
.LBB3_3:                                ; =>This Inner Loop Header: Depth=1
	s_sleep 1
	s_clause 0x1
	global_load_b64 v[12:13], v6, s[2:3] offset:40
	global_load_b64 v[14:15], v6, s[2:3]
	v_mov_b64_e32 v[10:11], v[8:9]
	s_wait_loadcnt 0x1
	s_delay_alu instid0(VALU_DEP_1) | instskip(SKIP_1) | instid1(VALU_DEP_1)
	v_and_b32_e32 v7, v12, v10
	s_wait_loadcnt 0x0
	v_mad_nc_u64_u32 v[8:9], v7, 24, v[14:15]
	s_delay_alu instid0(VALU_DEP_3) | instskip(NEXT) | instid1(VALU_DEP_1)
	v_and_b32_e32 v7, v13, v11
	v_mad_u32 v9, v7, 24, v9
	global_load_b64 v[8:9], v[8:9], off scope:SCOPE_SYS
	s_wait_xcnt 0x0
	s_wait_loadcnt 0x0
	global_atomic_cmpswap_b64 v[8:9], v6, v[8:11], s[2:3] offset:24 th:TH_ATOMIC_RETURN scope:SCOPE_SYS
	s_wait_loadcnt 0x0
	global_inv scope:SCOPE_SYS
	v_cmp_eq_u64_e32 vcc_lo, v[8:9], v[10:11]
	s_or_b32 s5, vcc_lo, s5
	s_wait_xcnt 0x0
	s_and_not1_b32 exec_lo, exec_lo, s5
	s_cbranch_execnz .LBB3_3
; %bb.4:
	s_or_b32 exec_lo, exec_lo, s5
.LBB3_5:
	s_delay_alu instid0(SALU_CYCLE_1)
	s_or_b32 exec_lo, exec_lo, s4
.LBB3_6:
	s_delay_alu instid0(SALU_CYCLE_1)
	s_or_b32 exec_lo, exec_lo, s1
	v_readfirstlane_b32 s4, v8
	v_mov_b32_e32 v7, 0
	v_readfirstlane_b32 s5, v9
	s_mov_b32 s1, exec_lo
	s_wait_kmcnt 0x0
	s_clause 0x1
	global_load_b64 v[14:15], v7, s[2:3] offset:40
	global_load_b128 v[10:13], v7, s[2:3]
	s_wait_loadcnt 0x1
	v_and_b32_e32 v16, s4, v14
	v_and_b32_e32 v17, s5, v15
	s_delay_alu instid0(VALU_DEP_1) | instskip(SKIP_1) | instid1(VALU_DEP_1)
	v_mul_u64_e32 v[8:9], 24, v[16:17]
	s_wait_loadcnt 0x0
	v_add_nc_u64_e32 v[14:15], v[10:11], v[8:9]
	s_wait_xcnt 0x0
	s_and_saveexec_b32 s6, s0
	s_cbranch_execz .LBB3_8
; %bb.7:
	v_mov_b64_e32 v[8:9], 0x100000002
	v_mov_b32_e32 v6, s1
	global_store_b128 v[14:15], v[6:9], off offset:8
.LBB3_8:
	s_wait_xcnt 0x0
	s_or_b32 exec_lo, exec_lo, s6
	v_lshlrev_b64_e32 v[8:9], 12, v[16:17]
	v_or_b32_e32 v6, 2, v0
	v_cmp_eq_u32_e32 vcc_lo, 0, v4
	s_mov_b32 s8, 0
	s_delay_alu instid0(SALU_CYCLE_1) | instskip(SKIP_1) | instid1(VALU_DEP_3)
	s_mov_b32 s10, s8
	s_mov_b32 s11, s8
	v_add_nc_u64_e32 v[8:9], v[12:13], v[8:9]
	v_dual_cndmask_b32 v0, v6, v0, vcc_lo :: v_dual_lshlrev_b32 v6, 6, v5
	s_mov_b32 s9, s8
	v_mov_b64_e32 v[18:19], s[10:11]
	v_mov_b64_e32 v[16:17], s[8:9]
	s_delay_alu instid0(VALU_DEP_3)
	v_and_or_b32 v0, 0xffffff1f, v0, 32
	v_readfirstlane_b32 s6, v8
	v_readfirstlane_b32 s7, v9
	s_clause 0x3
	global_store_b128 v6, v[0:3], s[6:7]
	global_store_b128 v6, v[16:19], s[6:7] offset:16
	global_store_b128 v6, v[16:19], s[6:7] offset:32
	;; [unrolled: 1-line block ×3, first 2 shown]
	s_wait_xcnt 0x0
	s_and_saveexec_b32 s1, s0
	s_cbranch_execz .LBB3_16
; %bb.9:
	v_dual_mov_b32 v12, 0 :: v_dual_mov_b32 v17, s5
	s_mov_b32 s6, exec_lo
	s_clause 0x1
	global_load_b64 v[18:19], v12, s[2:3] offset:32 scope:SCOPE_SYS
	global_load_b64 v[0:1], v12, s[2:3] offset:40
	s_wait_loadcnt 0x0
	v_dual_mov_b32 v16, s4 :: v_dual_bitop2_b32 v1, s5, v1 bitop3:0x40
	v_and_b32_e32 v0, s4, v0
	s_delay_alu instid0(VALU_DEP_1) | instskip(NEXT) | instid1(VALU_DEP_1)
	v_mul_u64_e32 v[0:1], 24, v[0:1]
	v_add_nc_u64_e32 v[4:5], v[10:11], v[0:1]
	global_store_b64 v[4:5], v[18:19], off
	global_wb scope:SCOPE_SYS
	s_wait_storecnt 0x0
	s_wait_xcnt 0x0
	global_atomic_cmpswap_b64 v[2:3], v12, v[16:19], s[2:3] offset:32 th:TH_ATOMIC_RETURN scope:SCOPE_SYS
	s_wait_loadcnt 0x0
	v_cmpx_ne_u64_e64 v[2:3], v[18:19]
	s_cbranch_execz .LBB3_12
; %bb.10:
	s_mov_b32 s7, 0
.LBB3_11:                               ; =>This Inner Loop Header: Depth=1
	v_dual_mov_b32 v0, s4 :: v_dual_mov_b32 v1, s5
	s_sleep 1
	global_store_b64 v[4:5], v[2:3], off
	global_wb scope:SCOPE_SYS
	s_wait_storecnt 0x0
	s_wait_xcnt 0x0
	global_atomic_cmpswap_b64 v[0:1], v12, v[0:3], s[2:3] offset:32 th:TH_ATOMIC_RETURN scope:SCOPE_SYS
	s_wait_loadcnt 0x0
	v_cmp_eq_u64_e32 vcc_lo, v[0:1], v[2:3]
	v_mov_b64_e32 v[2:3], v[0:1]
	s_or_b32 s7, vcc_lo, s7
	s_delay_alu instid0(SALU_CYCLE_1)
	s_and_not1_b32 exec_lo, exec_lo, s7
	s_cbranch_execnz .LBB3_11
.LBB3_12:
	s_or_b32 exec_lo, exec_lo, s6
	v_mov_b32_e32 v3, 0
	s_mov_b32 s7, exec_lo
	s_mov_b32 s6, exec_lo
	v_mbcnt_lo_u32_b32 v2, s7, 0
	global_load_b64 v[0:1], v3, s[2:3] offset:16
	s_wait_xcnt 0x0
	v_cmpx_eq_u32_e32 0, v2
	s_cbranch_execz .LBB3_14
; %bb.13:
	s_bcnt1_i32_b32 s7, s7
	s_delay_alu instid0(SALU_CYCLE_1)
	v_mov_b32_e32 v2, s7
	global_wb scope:SCOPE_SYS
	s_wait_loadcnt 0x0
	s_wait_storecnt 0x0
	global_atomic_add_u64 v[0:1], v[2:3], off offset:8 scope:SCOPE_SYS
.LBB3_14:
	s_wait_xcnt 0x0
	s_or_b32 exec_lo, exec_lo, s6
	s_wait_loadcnt 0x0
	global_load_b64 v[2:3], v[0:1], off offset:16
	s_wait_loadcnt 0x0
	v_cmp_eq_u64_e32 vcc_lo, 0, v[2:3]
	s_cbranch_vccnz .LBB3_16
; %bb.15:
	global_load_b32 v0, v[0:1], off offset:24
	s_wait_xcnt 0x0
	v_mov_b32_e32 v1, 0
	s_wait_loadcnt 0x0
	v_readfirstlane_b32 s6, v0
	global_wb scope:SCOPE_SYS
	s_wait_storecnt 0x0
	global_store_b64 v[2:3], v[0:1], off scope:SCOPE_SYS
	s_and_b32 m0, s6, 0xffffff
	s_sendmsg sendmsg(MSG_INTERRUPT)
.LBB3_16:
	s_wait_xcnt 0x0
	s_or_b32 exec_lo, exec_lo, s1
	v_add_nc_u64_e32 v[0:1], v[8:9], v[6:7]
	s_branch .LBB3_20
.LBB3_17:                               ;   in Loop: Header=BB3_20 Depth=1
	s_wait_xcnt 0x0
	s_or_b32 exec_lo, exec_lo, s1
	s_delay_alu instid0(VALU_DEP_1)
	v_readfirstlane_b32 s1, v2
	s_cmp_eq_u32 s1, 0
	s_cbranch_scc1 .LBB3_19
; %bb.18:                               ;   in Loop: Header=BB3_20 Depth=1
	s_sleep 1
	s_cbranch_execnz .LBB3_20
	s_branch .LBB3_22
.LBB3_19:
	s_branch .LBB3_22
.LBB3_20:                               ; =>This Inner Loop Header: Depth=1
	v_mov_b32_e32 v2, 1
	s_and_saveexec_b32 s1, s0
	s_cbranch_execz .LBB3_17
; %bb.21:                               ;   in Loop: Header=BB3_20 Depth=1
	global_load_b32 v2, v[14:15], off offset:20 scope:SCOPE_SYS
	s_wait_loadcnt 0x0
	global_inv scope:SCOPE_SYS
	v_and_b32_e32 v2, 1, v2
	s_branch .LBB3_17
.LBB3_22:
	global_load_b64 v[0:1], v[0:1], off
	s_wait_xcnt 0x0
	s_and_saveexec_b32 s6, s0
	s_cbranch_execz .LBB3_26
; %bb.23:
	v_mov_b32_e32 v8, 0
	s_clause 0x2
	global_load_b64 v[2:3], v8, s[2:3] offset:40
	global_load_b64 v[12:13], v8, s[2:3] offset:24 scope:SCOPE_SYS
	global_load_b64 v[4:5], v8, s[2:3]
	s_wait_loadcnt 0x2
	v_readfirstlane_b32 s8, v2
	v_readfirstlane_b32 s9, v3
	s_add_nc_u64 s[0:1], s[8:9], 1
	s_delay_alu instid0(SALU_CYCLE_1) | instskip(NEXT) | instid1(SALU_CYCLE_1)
	s_add_nc_u64 s[4:5], s[0:1], s[4:5]
	s_cmp_eq_u64 s[4:5], 0
	s_cselect_b32 s1, s1, s5
	s_cselect_b32 s0, s0, s4
	v_mov_b32_e32 v11, s1
	s_and_b64 s[4:5], s[0:1], s[8:9]
	v_mov_b32_e32 v10, s0
	s_mul_u64 s[4:5], s[4:5], 24
	s_wait_loadcnt 0x0
	v_add_nc_u64_e32 v[6:7], s[4:5], v[4:5]
	global_store_b64 v[6:7], v[12:13], off
	global_wb scope:SCOPE_SYS
	s_wait_storecnt 0x0
	s_wait_xcnt 0x0
	global_atomic_cmpswap_b64 v[4:5], v8, v[10:13], s[2:3] offset:24 th:TH_ATOMIC_RETURN scope:SCOPE_SYS
	s_wait_loadcnt 0x0
	v_cmp_ne_u64_e32 vcc_lo, v[4:5], v[12:13]
	s_and_b32 exec_lo, exec_lo, vcc_lo
	s_cbranch_execz .LBB3_26
; %bb.24:
	s_mov_b32 s4, 0
.LBB3_25:                               ; =>This Inner Loop Header: Depth=1
	v_dual_mov_b32 v2, s0 :: v_dual_mov_b32 v3, s1
	s_sleep 1
	global_store_b64 v[6:7], v[4:5], off
	global_wb scope:SCOPE_SYS
	s_wait_storecnt 0x0
	s_wait_xcnt 0x0
	global_atomic_cmpswap_b64 v[2:3], v8, v[2:5], s[2:3] offset:24 th:TH_ATOMIC_RETURN scope:SCOPE_SYS
	s_wait_loadcnt 0x0
	v_cmp_eq_u64_e32 vcc_lo, v[2:3], v[4:5]
	v_mov_b64_e32 v[4:5], v[2:3]
	s_or_b32 s4, vcc_lo, s4
	s_delay_alu instid0(SALU_CYCLE_1)
	s_and_not1_b32 exec_lo, exec_lo, s4
	s_cbranch_execnz .LBB3_25
.LBB3_26:
	s_or_b32 exec_lo, exec_lo, s6
	s_wait_loadcnt 0x0
	s_wait_kmcnt 0x0
	s_set_pc_i64 s[30:31]
.Lfunc_end3:
	.size	__ockl_printf_append_args, .Lfunc_end3-__ockl_printf_append_args
                                        ; -- End function
	.set .L__ockl_printf_append_args.num_vgpr, 20
	.set .L__ockl_printf_append_args.num_agpr, 0
	.set .L__ockl_printf_append_args.numbered_sgpr, 32
	.set .L__ockl_printf_append_args.num_named_barrier, 0
	.set .L__ockl_printf_append_args.private_seg_size, 0
	.set .L__ockl_printf_append_args.uses_vcc, 1
	.set .L__ockl_printf_append_args.uses_flat_scratch, 0
	.set .L__ockl_printf_append_args.has_dyn_sized_stack, 0
	.set .L__ockl_printf_append_args.has_recursion, 0
	.set .L__ockl_printf_append_args.has_indirect_call, 0
	.section	.AMDGPU.csdata,"",@progbits
; Function info:
; codeLenInByte = 1460
; TotalNumSgprs: 34
; NumVgprs: 20
; ScratchSize: 0
; MemoryBound: 0
	.text
	.p2align	2                               ; -- Begin function __ockl_printf_begin
	.type	__ockl_printf_begin,@function
__ockl_printf_begin:                    ; @__ockl_printf_begin
; %bb.0:
	s_wait_loadcnt_dscnt 0x0
	s_wait_kmcnt 0x0
	s_load_b64 s[2:3], s[8:9], 0x50
	v_mbcnt_lo_u32_b32 v12, -1, 0
	v_mov_b64_e32 v[2:3], 0
	s_delay_alu instid0(VALU_DEP_2) | instskip(NEXT) | instid1(VALU_DEP_1)
	v_readfirstlane_b32 s0, v12
	v_cmp_eq_u32_e64 s0, s0, v12
	s_and_saveexec_b32 s1, s0
	s_cbranch_execz .LBB4_6
; %bb.1:
	v_mov_b32_e32 v0, 0
	s_mov_b32 s4, exec_lo
	s_wait_kmcnt 0x0
	global_load_b64 v[4:5], v0, s[2:3] offset:24 scope:SCOPE_SYS
	s_wait_loadcnt 0x0
	global_inv scope:SCOPE_SYS
	s_clause 0x1
	global_load_b64 v[2:3], v0, s[2:3] offset:40
	global_load_b64 v[6:7], v0, s[2:3]
	s_wait_loadcnt 0x1
	v_and_b32_e32 v2, v2, v4
	v_and_b32_e32 v3, v3, v5
	s_delay_alu instid0(VALU_DEP_1) | instskip(SKIP_1) | instid1(VALU_DEP_1)
	v_mul_u64_e32 v[2:3], 24, v[2:3]
	s_wait_loadcnt 0x0
	v_add_nc_u64_e32 v[2:3], v[6:7], v[2:3]
	global_load_b64 v[2:3], v[2:3], off scope:SCOPE_SYS
	s_wait_xcnt 0x0
	s_wait_loadcnt 0x0
	global_atomic_cmpswap_b64 v[2:3], v0, v[2:5], s[2:3] offset:24 th:TH_ATOMIC_RETURN scope:SCOPE_SYS
	s_wait_loadcnt 0x0
	global_inv scope:SCOPE_SYS
	s_wait_xcnt 0x0
	v_cmpx_ne_u64_e64 v[2:3], v[4:5]
	s_cbranch_execz .LBB4_5
; %bb.2:
	s_mov_b32 s5, 0
.LBB4_3:                                ; =>This Inner Loop Header: Depth=1
	s_sleep 1
	s_clause 0x1
	global_load_b64 v[6:7], v0, s[2:3] offset:40
	global_load_b64 v[8:9], v0, s[2:3]
	v_mov_b64_e32 v[4:5], v[2:3]
	s_wait_loadcnt 0x1
	s_delay_alu instid0(VALU_DEP_1) | instskip(SKIP_1) | instid1(VALU_DEP_1)
	v_and_b32_e32 v1, v6, v4
	s_wait_loadcnt 0x0
	v_mad_nc_u64_u32 v[2:3], v1, 24, v[8:9]
	s_delay_alu instid0(VALU_DEP_3) | instskip(NEXT) | instid1(VALU_DEP_1)
	v_and_b32_e32 v1, v7, v5
	v_mad_u32 v3, v1, 24, v3
	global_load_b64 v[2:3], v[2:3], off scope:SCOPE_SYS
	s_wait_xcnt 0x0
	s_wait_loadcnt 0x0
	global_atomic_cmpswap_b64 v[2:3], v0, v[2:5], s[2:3] offset:24 th:TH_ATOMIC_RETURN scope:SCOPE_SYS
	s_wait_loadcnt 0x0
	global_inv scope:SCOPE_SYS
	v_cmp_eq_u64_e32 vcc_lo, v[2:3], v[4:5]
	s_or_b32 s5, vcc_lo, s5
	s_wait_xcnt 0x0
	s_and_not1_b32 exec_lo, exec_lo, s5
	s_cbranch_execnz .LBB4_3
; %bb.4:
	s_or_b32 exec_lo, exec_lo, s5
.LBB4_5:
	s_delay_alu instid0(SALU_CYCLE_1)
	s_or_b32 exec_lo, exec_lo, s4
.LBB4_6:
	s_delay_alu instid0(SALU_CYCLE_1)
	s_or_b32 exec_lo, exec_lo, s1
	v_readfirstlane_b32 s4, v2
	v_mov_b32_e32 v1, 0
	v_readfirstlane_b32 s5, v3
	s_mov_b32 s1, exec_lo
	s_wait_kmcnt 0x0
	s_clause 0x1
	global_load_b64 v[8:9], v1, s[2:3] offset:40
	global_load_b128 v[4:7], v1, s[2:3]
	s_wait_loadcnt 0x1
	v_and_b32_e32 v10, s4, v8
	v_and_b32_e32 v11, s5, v9
	s_delay_alu instid0(VALU_DEP_1) | instskip(SKIP_1) | instid1(VALU_DEP_1)
	v_mul_u64_e32 v[2:3], 24, v[10:11]
	s_wait_loadcnt 0x0
	v_add_nc_u64_e32 v[8:9], v[4:5], v[2:3]
	s_wait_xcnt 0x0
	s_and_saveexec_b32 s6, s0
	s_cbranch_execz .LBB4_8
; %bb.7:
	v_mov_b64_e32 v[2:3], 0x100000002
	v_mov_b32_e32 v0, s1
	global_store_b128 v[8:9], v[0:3], off offset:8
.LBB4_8:
	s_wait_xcnt 0x0
	s_or_b32 exec_lo, exec_lo, s6
	v_lshlrev_b64_e32 v[2:3], 12, v[10:11]
	s_mov_b32 s8, 0
	v_dual_lshlrev_b32 v0, 6, v12 :: v_dual_mov_b32 v10, 33
	s_mov_b32 s10, s8
	s_mov_b32 s11, s8
	;; [unrolled: 1-line block ×3, first 2 shown]
	s_delay_alu instid0(VALU_DEP_2)
	v_add_nc_u64_e32 v[6:7], v[6:7], v[2:3]
	v_mov_b64_e32 v[16:17], s[10:11]
	v_mov_b64_e32 v[14:15], s[8:9]
	v_dual_mov_b32 v11, v1 :: v_dual_mov_b32 v12, v1
	v_mov_b32_e32 v13, v1
	v_readfirstlane_b32 s6, v6
	v_readfirstlane_b32 s7, v7
	s_clause 0x3
	global_store_b128 v0, v[10:13], s[6:7]
	global_store_b128 v0, v[14:17], s[6:7] offset:16
	global_store_b128 v0, v[14:17], s[6:7] offset:32
	;; [unrolled: 1-line block ×3, first 2 shown]
	s_wait_xcnt 0x0
	s_and_saveexec_b32 s1, s0
	s_cbranch_execz .LBB4_16
; %bb.9:
	v_dual_mov_b32 v12, 0 :: v_dual_mov_b32 v15, s5
	s_mov_b32 s6, exec_lo
	s_clause 0x1
	global_load_b64 v[16:17], v12, s[2:3] offset:32 scope:SCOPE_SYS
	global_load_b64 v[2:3], v12, s[2:3] offset:40
	s_wait_loadcnt 0x0
	v_dual_mov_b32 v14, s4 :: v_dual_bitop2_b32 v3, s5, v3 bitop3:0x40
	v_and_b32_e32 v2, s4, v2
	s_delay_alu instid0(VALU_DEP_1) | instskip(NEXT) | instid1(VALU_DEP_1)
	v_mul_u64_e32 v[2:3], 24, v[2:3]
	v_add_nc_u64_e32 v[10:11], v[4:5], v[2:3]
	global_store_b64 v[10:11], v[16:17], off
	global_wb scope:SCOPE_SYS
	s_wait_storecnt 0x0
	s_wait_xcnt 0x0
	global_atomic_cmpswap_b64 v[4:5], v12, v[14:17], s[2:3] offset:32 th:TH_ATOMIC_RETURN scope:SCOPE_SYS
	s_wait_loadcnt 0x0
	v_cmpx_ne_u64_e64 v[4:5], v[16:17]
	s_cbranch_execz .LBB4_12
; %bb.10:
	s_mov_b32 s7, 0
.LBB4_11:                               ; =>This Inner Loop Header: Depth=1
	v_dual_mov_b32 v2, s4 :: v_dual_mov_b32 v3, s5
	s_sleep 1
	global_store_b64 v[10:11], v[4:5], off
	global_wb scope:SCOPE_SYS
	s_wait_storecnt 0x0
	s_wait_xcnt 0x0
	global_atomic_cmpswap_b64 v[2:3], v12, v[2:5], s[2:3] offset:32 th:TH_ATOMIC_RETURN scope:SCOPE_SYS
	s_wait_loadcnt 0x0
	v_cmp_eq_u64_e32 vcc_lo, v[2:3], v[4:5]
	v_mov_b64_e32 v[4:5], v[2:3]
	s_or_b32 s7, vcc_lo, s7
	s_delay_alu instid0(SALU_CYCLE_1)
	s_and_not1_b32 exec_lo, exec_lo, s7
	s_cbranch_execnz .LBB4_11
.LBB4_12:
	s_or_b32 exec_lo, exec_lo, s6
	v_mov_b32_e32 v5, 0
	s_mov_b32 s7, exec_lo
	s_mov_b32 s6, exec_lo
	v_mbcnt_lo_u32_b32 v4, s7, 0
	global_load_b64 v[2:3], v5, s[2:3] offset:16
	s_wait_xcnt 0x0
	v_cmpx_eq_u32_e32 0, v4
	s_cbranch_execz .LBB4_14
; %bb.13:
	s_bcnt1_i32_b32 s7, s7
	s_delay_alu instid0(SALU_CYCLE_1)
	v_mov_b32_e32 v4, s7
	global_wb scope:SCOPE_SYS
	s_wait_loadcnt 0x0
	s_wait_storecnt 0x0
	global_atomic_add_u64 v[2:3], v[4:5], off offset:8 scope:SCOPE_SYS
.LBB4_14:
	s_wait_xcnt 0x0
	s_or_b32 exec_lo, exec_lo, s6
	s_wait_loadcnt 0x0
	global_load_b64 v[4:5], v[2:3], off offset:16
	s_wait_loadcnt 0x0
	v_cmp_eq_u64_e32 vcc_lo, 0, v[4:5]
	s_cbranch_vccnz .LBB4_16
; %bb.15:
	global_load_b32 v2, v[2:3], off offset:24
	s_wait_xcnt 0x0
	v_mov_b32_e32 v3, 0
	s_wait_loadcnt 0x0
	v_readfirstlane_b32 s6, v2
	global_wb scope:SCOPE_SYS
	s_wait_storecnt 0x0
	global_store_b64 v[4:5], v[2:3], off scope:SCOPE_SYS
	s_and_b32 m0, s6, 0xffffff
	s_sendmsg sendmsg(MSG_INTERRUPT)
.LBB4_16:
	s_wait_xcnt 0x0
	s_or_b32 exec_lo, exec_lo, s1
	v_add_nc_u64_e32 v[0:1], v[6:7], v[0:1]
	s_branch .LBB4_20
.LBB4_17:                               ;   in Loop: Header=BB4_20 Depth=1
	s_wait_xcnt 0x0
	s_or_b32 exec_lo, exec_lo, s1
	s_delay_alu instid0(VALU_DEP_1)
	v_readfirstlane_b32 s1, v2
	s_cmp_eq_u32 s1, 0
	s_cbranch_scc1 .LBB4_19
; %bb.18:                               ;   in Loop: Header=BB4_20 Depth=1
	s_sleep 1
	s_cbranch_execnz .LBB4_20
	s_branch .LBB4_22
.LBB4_19:
	s_branch .LBB4_22
.LBB4_20:                               ; =>This Inner Loop Header: Depth=1
	v_mov_b32_e32 v2, 1
	s_and_saveexec_b32 s1, s0
	s_cbranch_execz .LBB4_17
; %bb.21:                               ;   in Loop: Header=BB4_20 Depth=1
	global_load_b32 v2, v[8:9], off offset:20 scope:SCOPE_SYS
	s_wait_loadcnt 0x0
	global_inv scope:SCOPE_SYS
	v_and_b32_e32 v2, 1, v2
	s_branch .LBB4_17
.LBB4_22:
	global_load_b64 v[0:1], v[0:1], off
	s_wait_xcnt 0x0
	s_and_saveexec_b32 s6, s0
	s_cbranch_execz .LBB4_26
; %bb.23:
	v_mov_b32_e32 v8, 0
	s_clause 0x2
	global_load_b64 v[2:3], v8, s[2:3] offset:40
	global_load_b64 v[12:13], v8, s[2:3] offset:24 scope:SCOPE_SYS
	global_load_b64 v[4:5], v8, s[2:3]
	s_wait_loadcnt 0x2
	v_readfirstlane_b32 s8, v2
	v_readfirstlane_b32 s9, v3
	s_add_nc_u64 s[0:1], s[8:9], 1
	s_delay_alu instid0(SALU_CYCLE_1) | instskip(NEXT) | instid1(SALU_CYCLE_1)
	s_add_nc_u64 s[4:5], s[0:1], s[4:5]
	s_cmp_eq_u64 s[4:5], 0
	s_cselect_b32 s1, s1, s5
	s_cselect_b32 s0, s0, s4
	v_mov_b32_e32 v11, s1
	s_and_b64 s[4:5], s[0:1], s[8:9]
	v_mov_b32_e32 v10, s0
	s_mul_u64 s[4:5], s[4:5], 24
	s_wait_loadcnt 0x0
	v_add_nc_u64_e32 v[6:7], s[4:5], v[4:5]
	global_store_b64 v[6:7], v[12:13], off
	global_wb scope:SCOPE_SYS
	s_wait_storecnt 0x0
	s_wait_xcnt 0x0
	global_atomic_cmpswap_b64 v[4:5], v8, v[10:13], s[2:3] offset:24 th:TH_ATOMIC_RETURN scope:SCOPE_SYS
	s_wait_loadcnt 0x0
	v_cmp_ne_u64_e32 vcc_lo, v[4:5], v[12:13]
	s_and_b32 exec_lo, exec_lo, vcc_lo
	s_cbranch_execz .LBB4_26
; %bb.24:
	s_mov_b32 s4, 0
.LBB4_25:                               ; =>This Inner Loop Header: Depth=1
	v_dual_mov_b32 v2, s0 :: v_dual_mov_b32 v3, s1
	s_sleep 1
	global_store_b64 v[6:7], v[4:5], off
	global_wb scope:SCOPE_SYS
	s_wait_storecnt 0x0
	s_wait_xcnt 0x0
	global_atomic_cmpswap_b64 v[2:3], v8, v[2:5], s[2:3] offset:24 th:TH_ATOMIC_RETURN scope:SCOPE_SYS
	s_wait_loadcnt 0x0
	v_cmp_eq_u64_e32 vcc_lo, v[2:3], v[4:5]
	v_mov_b64_e32 v[4:5], v[2:3]
	s_or_b32 s4, vcc_lo, s4
	s_delay_alu instid0(SALU_CYCLE_1)
	s_and_not1_b32 exec_lo, exec_lo, s4
	s_cbranch_execnz .LBB4_25
.LBB4_26:
	s_or_b32 exec_lo, exec_lo, s6
	s_wait_loadcnt 0x0
	s_wait_kmcnt 0x0
	s_set_pc_i64 s[30:31]
.Lfunc_end4:
	.size	__ockl_printf_begin, .Lfunc_end4-__ockl_printf_begin
                                        ; -- End function
	.set .L__ockl_printf_begin.num_vgpr, 18
	.set .L__ockl_printf_begin.num_agpr, 0
	.set .L__ockl_printf_begin.numbered_sgpr, 32
	.set .L__ockl_printf_begin.num_named_barrier, 0
	.set .L__ockl_printf_begin.private_seg_size, 0
	.set .L__ockl_printf_begin.uses_vcc, 1
	.set .L__ockl_printf_begin.uses_flat_scratch, 0
	.set .L__ockl_printf_begin.has_dyn_sized_stack, 0
	.set .L__ockl_printf_begin.has_recursion, 0
	.set .L__ockl_printf_begin.has_indirect_call, 0
	.section	.AMDGPU.csdata,"",@progbits
; Function info:
; codeLenInByte = 1448
; TotalNumSgprs: 34
; NumVgprs: 18
; ScratchSize: 0
; MemoryBound: 0
	.text
	.protected	_Z16showDeviceKernelPiS_S_S_S_S_S_S_S_ ; -- Begin function _Z16showDeviceKernelPiS_S_S_S_S_S_S_S_
	.globl	_Z16showDeviceKernelPiS_S_S_S_S_S_S_S_
	.p2align	8
	.type	_Z16showDeviceKernelPiS_S_S_S_S_S_S_S_,@function
_Z16showDeviceKernelPiS_S_S_S_S_S_S_S_: ; @_Z16showDeviceKernelPiS_S_S_S_S_S_S_S_
; %bb.0:
	s_load_b64 s[34:35], s[0:1], 0x98
	v_mbcnt_lo_u32_b32 v56, -1, 0
	v_mov_b64_e32 v[4:5], 0
	s_mov_b32 s32, 0
	s_delay_alu instid0(VALU_DEP_2) | instskip(NEXT) | instid1(VALU_DEP_1)
	v_readfirstlane_b32 s2, v56
	v_cmp_eq_u32_e64 s2, s2, v56
	s_and_saveexec_b32 s3, s2
	s_cbranch_execz .LBB5_6
; %bb.1:
	v_mov_b32_e32 v0, 0
	s_mov_b32 s4, exec_lo
	s_wait_kmcnt 0x0
	global_load_b64 v[6:7], v0, s[34:35] offset:24 scope:SCOPE_SYS
	s_wait_loadcnt 0x0
	global_inv scope:SCOPE_SYS
	s_clause 0x1
	global_load_b64 v[2:3], v0, s[34:35] offset:40
	global_load_b64 v[4:5], v0, s[34:35]
	s_wait_loadcnt 0x1
	v_and_b32_e32 v2, v2, v6
	v_and_b32_e32 v3, v3, v7
	s_delay_alu instid0(VALU_DEP_1) | instskip(SKIP_1) | instid1(VALU_DEP_1)
	v_mul_u64_e32 v[2:3], 24, v[2:3]
	s_wait_loadcnt 0x0
	v_add_nc_u64_e32 v[2:3], v[4:5], v[2:3]
	global_load_b64 v[4:5], v[2:3], off scope:SCOPE_SYS
	s_wait_xcnt 0x0
	s_wait_loadcnt 0x0
	global_atomic_cmpswap_b64 v[4:5], v0, v[4:7], s[34:35] offset:24 th:TH_ATOMIC_RETURN scope:SCOPE_SYS
	s_wait_loadcnt 0x0
	global_inv scope:SCOPE_SYS
	s_wait_xcnt 0x0
	v_cmpx_ne_u64_e64 v[4:5], v[6:7]
	s_cbranch_execz .LBB5_5
; %bb.2:
	s_mov_b32 s5, 0
.LBB5_3:                                ; =>This Inner Loop Header: Depth=1
	s_sleep 1
	s_clause 0x1
	global_load_b64 v[2:3], v0, s[34:35] offset:40
	global_load_b64 v[8:9], v0, s[34:35]
	v_mov_b64_e32 v[6:7], v[4:5]
	s_wait_loadcnt 0x1
	s_delay_alu instid0(VALU_DEP_1) | instskip(SKIP_1) | instid1(VALU_DEP_1)
	v_and_b32_e32 v1, v2, v6
	s_wait_loadcnt 0x0
	v_mad_nc_u64_u32 v[4:5], v1, 24, v[8:9]
	s_delay_alu instid0(VALU_DEP_3) | instskip(NEXT) | instid1(VALU_DEP_1)
	v_and_b32_e32 v1, v3, v7
	v_mad_u32 v5, v1, 24, v5
	global_load_b64 v[4:5], v[4:5], off scope:SCOPE_SYS
	s_wait_xcnt 0x0
	s_wait_loadcnt 0x0
	global_atomic_cmpswap_b64 v[4:5], v0, v[4:7], s[34:35] offset:24 th:TH_ATOMIC_RETURN scope:SCOPE_SYS
	s_wait_loadcnt 0x0
	global_inv scope:SCOPE_SYS
	v_cmp_eq_u64_e32 vcc_lo, v[4:5], v[6:7]
	s_or_b32 s5, vcc_lo, s5
	s_wait_xcnt 0x0
	s_and_not1_b32 exec_lo, exec_lo, s5
	s_cbranch_execnz .LBB5_3
; %bb.4:
	s_or_b32 exec_lo, exec_lo, s5
.LBB5_5:
	s_delay_alu instid0(SALU_CYCLE_1)
	s_or_b32 exec_lo, exec_lo, s4
.LBB5_6:
	s_delay_alu instid0(SALU_CYCLE_1)
	s_or_b32 exec_lo, exec_lo, s3
	v_readfirstlane_b32 s4, v4
	v_mov_b32_e32 v43, 0
	v_readfirstlane_b32 s5, v5
	s_mov_b32 s3, exec_lo
	s_wait_kmcnt 0x0
	s_clause 0x1
	global_load_b64 v[6:7], v43, s[34:35] offset:40
	global_load_b128 v[0:3], v43, s[34:35]
	s_wait_loadcnt 0x1
	v_and_b32_e32 v6, s4, v6
	v_and_b32_e32 v7, s5, v7
	s_delay_alu instid0(VALU_DEP_1) | instskip(SKIP_1) | instid1(VALU_DEP_1)
	v_mul_u64_e32 v[4:5], 24, v[6:7]
	s_wait_loadcnt 0x0
	v_add_nc_u64_e32 v[4:5], v[0:1], v[4:5]
	s_and_saveexec_b32 s6, s2
	s_cbranch_execz .LBB5_8
; %bb.7:
	v_mov_b64_e32 v[44:45], 0x100000002
	v_mov_b32_e32 v42, s3
	global_store_b128 v[4:5], v[42:45], off offset:8
.LBB5_8:
	s_wait_xcnt 0x0
	s_or_b32 exec_lo, exec_lo, s6
	v_lshlrev_b64_e32 v[6:7], 12, v[6:7]
	s_mov_b32 s8, 0
	v_dual_lshlrev_b32 v42, 6, v56 :: v_dual_mov_b32 v8, 33
	s_mov_b32 s10, s8
	s_mov_b32 s11, s8
	;; [unrolled: 1-line block ×3, first 2 shown]
	s_delay_alu instid0(VALU_DEP_2)
	v_add_nc_u64_e32 v[6:7], v[2:3], v[6:7]
	v_mov_b64_e32 v[14:15], s[10:11]
	v_mov_b64_e32 v[12:13], s[8:9]
	v_dual_mov_b32 v9, v43 :: v_dual_mov_b32 v10, v43
	v_mov_b32_e32 v11, v43
	v_readfirstlane_b32 s6, v6
	v_readfirstlane_b32 s7, v7
	s_clause 0x3
	global_store_b128 v42, v[8:11], s[6:7]
	global_store_b128 v42, v[12:15], s[6:7] offset:16
	global_store_b128 v42, v[12:15], s[6:7] offset:32
	;; [unrolled: 1-line block ×3, first 2 shown]
	s_wait_xcnt 0x0
	s_and_saveexec_b32 s3, s2
	s_cbranch_execz .LBB5_16
; %bb.9:
	v_dual_mov_b32 v10, 0 :: v_dual_mov_b32 v13, s5
	s_mov_b32 s6, exec_lo
	s_clause 0x1
	global_load_b64 v[14:15], v10, s[34:35] offset:32 scope:SCOPE_SYS
	global_load_b64 v[2:3], v10, s[34:35] offset:40
	s_wait_loadcnt 0x0
	v_dual_mov_b32 v12, s4 :: v_dual_bitop2_b32 v3, s5, v3 bitop3:0x40
	v_and_b32_e32 v2, s4, v2
	s_delay_alu instid0(VALU_DEP_1) | instskip(NEXT) | instid1(VALU_DEP_1)
	v_mul_u64_e32 v[2:3], 24, v[2:3]
	v_add_nc_u64_e32 v[8:9], v[0:1], v[2:3]
	global_store_b64 v[8:9], v[14:15], off
	global_wb scope:SCOPE_SYS
	s_wait_storecnt 0x0
	s_wait_xcnt 0x0
	global_atomic_cmpswap_b64 v[2:3], v10, v[12:15], s[34:35] offset:32 th:TH_ATOMIC_RETURN scope:SCOPE_SYS
	s_wait_loadcnt 0x0
	v_cmpx_ne_u64_e64 v[2:3], v[14:15]
	s_cbranch_execz .LBB5_12
; %bb.10:
	s_mov_b32 s7, 0
.LBB5_11:                               ; =>This Inner Loop Header: Depth=1
	v_dual_mov_b32 v0, s4 :: v_dual_mov_b32 v1, s5
	s_sleep 1
	global_store_b64 v[8:9], v[2:3], off
	global_wb scope:SCOPE_SYS
	s_wait_storecnt 0x0
	s_wait_xcnt 0x0
	global_atomic_cmpswap_b64 v[0:1], v10, v[0:3], s[34:35] offset:32 th:TH_ATOMIC_RETURN scope:SCOPE_SYS
	s_wait_loadcnt 0x0
	v_cmp_eq_u64_e32 vcc_lo, v[0:1], v[2:3]
	v_mov_b64_e32 v[2:3], v[0:1]
	s_or_b32 s7, vcc_lo, s7
	s_delay_alu instid0(SALU_CYCLE_1)
	s_and_not1_b32 exec_lo, exec_lo, s7
	s_cbranch_execnz .LBB5_11
.LBB5_12:
	s_or_b32 exec_lo, exec_lo, s6
	v_mov_b32_e32 v3, 0
	s_mov_b32 s7, exec_lo
	s_mov_b32 s6, exec_lo
	v_mbcnt_lo_u32_b32 v2, s7, 0
	global_load_b64 v[0:1], v3, s[34:35] offset:16
	s_wait_xcnt 0x0
	v_cmpx_eq_u32_e32 0, v2
	s_cbranch_execz .LBB5_14
; %bb.13:
	s_bcnt1_i32_b32 s7, s7
	s_delay_alu instid0(SALU_CYCLE_1)
	v_mov_b32_e32 v2, s7
	global_wb scope:SCOPE_SYS
	s_wait_loadcnt 0x0
	s_wait_storecnt 0x0
	global_atomic_add_u64 v[0:1], v[2:3], off offset:8 scope:SCOPE_SYS
.LBB5_14:
	s_wait_xcnt 0x0
	s_or_b32 exec_lo, exec_lo, s6
	s_wait_loadcnt 0x0
	global_load_b64 v[2:3], v[0:1], off offset:16
	s_wait_loadcnt 0x0
	v_cmp_eq_u64_e32 vcc_lo, 0, v[2:3]
	s_cbranch_vccnz .LBB5_16
; %bb.15:
	global_load_b32 v0, v[0:1], off offset:24
	s_wait_xcnt 0x0
	v_mov_b32_e32 v1, 0
	s_wait_loadcnt 0x0
	v_readfirstlane_b32 s6, v0
	global_wb scope:SCOPE_SYS
	s_wait_storecnt 0x0
	global_store_b64 v[2:3], v[0:1], off scope:SCOPE_SYS
	s_and_b32 m0, s6, 0xffffff
	s_sendmsg sendmsg(MSG_INTERRUPT)
.LBB5_16:
	s_wait_xcnt 0x0
	s_or_b32 exec_lo, exec_lo, s3
	v_add_nc_u64_e32 v[0:1], v[6:7], v[42:43]
	s_branch .LBB5_20
.LBB5_17:                               ;   in Loop: Header=BB5_20 Depth=1
	s_wait_xcnt 0x0
	s_or_b32 exec_lo, exec_lo, s3
	s_delay_alu instid0(VALU_DEP_1)
	v_readfirstlane_b32 s3, v2
	s_cmp_eq_u32 s3, 0
	s_cbranch_scc1 .LBB5_19
; %bb.18:                               ;   in Loop: Header=BB5_20 Depth=1
	s_sleep 1
	s_cbranch_execnz .LBB5_20
	s_branch .LBB5_22
.LBB5_19:
	s_branch .LBB5_22
.LBB5_20:                               ; =>This Inner Loop Header: Depth=1
	v_mov_b32_e32 v2, 1
	s_and_saveexec_b32 s3, s2
	s_cbranch_execz .LBB5_17
; %bb.21:                               ;   in Loop: Header=BB5_20 Depth=1
	global_load_b32 v2, v[4:5], off offset:20 scope:SCOPE_SYS
	s_wait_loadcnt 0x0
	global_inv scope:SCOPE_SYS
	v_and_b32_e32 v2, 1, v2
	s_branch .LBB5_17
.LBB5_22:
	global_load_b64 v[0:1], v[0:1], off
	s_wait_xcnt 0x0
	s_and_saveexec_b32 s6, s2
	s_cbranch_execz .LBB5_26
; %bb.23:
	v_mov_b32_e32 v8, 0
	s_clause 0x2
	global_load_b64 v[2:3], v8, s[34:35] offset:40
	global_load_b64 v[12:13], v8, s[34:35] offset:24 scope:SCOPE_SYS
	global_load_b64 v[4:5], v8, s[34:35]
	s_wait_loadcnt 0x2
	v_readfirstlane_b32 s8, v2
	v_readfirstlane_b32 s9, v3
	s_add_nc_u64 s[2:3], s[8:9], 1
	s_delay_alu instid0(SALU_CYCLE_1) | instskip(NEXT) | instid1(SALU_CYCLE_1)
	s_add_nc_u64 s[4:5], s[2:3], s[4:5]
	s_cmp_eq_u64 s[4:5], 0
	s_cselect_b32 s3, s3, s5
	s_cselect_b32 s2, s2, s4
	v_mov_b32_e32 v11, s3
	s_and_b64 s[4:5], s[2:3], s[8:9]
	v_mov_b32_e32 v10, s2
	s_mul_u64 s[4:5], s[4:5], 24
	s_wait_loadcnt 0x0
	v_add_nc_u64_e32 v[6:7], s[4:5], v[4:5]
	global_store_b64 v[6:7], v[12:13], off
	global_wb scope:SCOPE_SYS
	s_wait_storecnt 0x0
	s_wait_xcnt 0x0
	global_atomic_cmpswap_b64 v[4:5], v8, v[10:13], s[34:35] offset:24 th:TH_ATOMIC_RETURN scope:SCOPE_SYS
	s_wait_loadcnt 0x0
	v_cmp_ne_u64_e32 vcc_lo, v[4:5], v[12:13]
	s_and_b32 exec_lo, exec_lo, vcc_lo
	s_cbranch_execz .LBB5_26
; %bb.24:
	s_mov_b32 s4, 0
.LBB5_25:                               ; =>This Inner Loop Header: Depth=1
	v_dual_mov_b32 v2, s2 :: v_dual_mov_b32 v3, s3
	s_sleep 1
	global_store_b64 v[6:7], v[4:5], off
	global_wb scope:SCOPE_SYS
	s_wait_storecnt 0x0
	s_wait_xcnt 0x0
	global_atomic_cmpswap_b64 v[2:3], v8, v[2:5], s[34:35] offset:24 th:TH_ATOMIC_RETURN scope:SCOPE_SYS
	s_wait_loadcnt 0x0
	v_cmp_eq_u64_e32 vcc_lo, v[2:3], v[4:5]
	v_mov_b64_e32 v[4:5], v[2:3]
	s_or_b32 s4, vcc_lo, s4
	s_delay_alu instid0(SALU_CYCLE_1)
	s_and_not1_b32 exec_lo, exec_lo, s4
	s_cbranch_execnz .LBB5_25
.LBB5_26:
	s_or_b32 exec_lo, exec_lo, s6
	s_get_pc_i64 s[4:5]
	s_add_nc_u64 s[4:5], s[4:5], .str@rel64+4
	s_delay_alu instid0(SALU_CYCLE_1)
	s_cmp_lg_u64 s[4:5], 0
	s_cbranch_scc0 .LBB5_105
; %bb.27:
	v_mov_b64_e32 v[4:5], 0x100000002
	s_wait_loadcnt 0x0
	v_dual_mov_b32 v7, v1 :: v_dual_bitop2_b32 v6, -3, v0 bitop3:0x40
	v_mov_b32_e32 v3, 0
	s_mov_b64 s[6:7], 35
	s_branch .LBB5_29
.LBB5_28:                               ;   in Loop: Header=BB5_29 Depth=1
	s_or_b32 exec_lo, exec_lo, s12
	s_sub_nc_u64 s[6:7], s[6:7], s[8:9]
	s_add_nc_u64 s[4:5], s[4:5], s[8:9]
	s_cmp_lg_u64 s[6:7], 0
	s_cbranch_scc0 .LBB5_104
.LBB5_29:                               ; =>This Loop Header: Depth=1
                                        ;     Child Loop BB5_32 Depth 2
                                        ;     Child Loop BB5_39 Depth 2
	;; [unrolled: 1-line block ×11, first 2 shown]
	s_wait_loadcnt 0x0
	v_min_u64 v[8:9], s[6:7], 56
	v_cmp_gt_u64_e64 s2, s[6:7], 7
	s_and_b32 vcc_lo, exec_lo, s2
	v_readfirstlane_b32 s8, v8
	v_readfirstlane_b32 s9, v9
	s_cbranch_vccnz .LBB5_34
; %bb.30:                               ;   in Loop: Header=BB5_29 Depth=1
	v_mov_b64_e32 v[8:9], 0
	s_cmp_eq_u64 s[6:7], 0
	s_cbranch_scc1 .LBB5_33
; %bb.31:                               ;   in Loop: Header=BB5_29 Depth=1
	s_mov_b64 s[2:3], 0
	s_mov_b64 s[10:11], 0
.LBB5_32:                               ;   Parent Loop BB5_29 Depth=1
                                        ; =>  This Inner Loop Header: Depth=2
	s_wait_xcnt 0x0
	s_add_nc_u64 s[12:13], s[4:5], s[10:11]
	s_add_nc_u64 s[10:11], s[10:11], 1
	global_load_u8 v2, v3, s[12:13]
	s_cmp_lg_u32 s8, s10
	s_wait_loadcnt 0x0
	v_and_b32_e32 v2, 0xffff, v2
	s_delay_alu instid0(VALU_DEP_1) | instskip(SKIP_1) | instid1(VALU_DEP_1)
	v_lshlrev_b64_e32 v[10:11], s2, v[2:3]
	s_add_nc_u64 s[2:3], s[2:3], 8
	v_or_b32_e32 v8, v10, v8
	s_delay_alu instid0(VALU_DEP_2)
	v_or_b32_e32 v9, v11, v9
	s_cbranch_scc1 .LBB5_32
.LBB5_33:                               ;   in Loop: Header=BB5_29 Depth=1
	s_mov_b64 s[10:11], s[4:5]
	s_mov_b32 s14, 0
	s_cbranch_execz .LBB5_35
	s_branch .LBB5_36
.LBB5_34:                               ;   in Loop: Header=BB5_29 Depth=1
	s_add_nc_u64 s[10:11], s[4:5], 8
	s_mov_b32 s14, 0
.LBB5_35:                               ;   in Loop: Header=BB5_29 Depth=1
	global_load_b64 v[8:9], v3, s[4:5]
	s_add_co_i32 s14, s8, -8
.LBB5_36:                               ;   in Loop: Header=BB5_29 Depth=1
	s_delay_alu instid0(SALU_CYCLE_1)
	s_cmp_gt_u32 s14, 7
	s_cbranch_scc1 .LBB5_41
; %bb.37:                               ;   in Loop: Header=BB5_29 Depth=1
	v_mov_b64_e32 v[10:11], 0
	s_cmp_eq_u32 s14, 0
	s_cbranch_scc1 .LBB5_40
; %bb.38:                               ;   in Loop: Header=BB5_29 Depth=1
	s_mov_b64 s[2:3], 0
	s_wait_xcnt 0x0
	s_mov_b64 s[12:13], 0
.LBB5_39:                               ;   Parent Loop BB5_29 Depth=1
                                        ; =>  This Inner Loop Header: Depth=2
	s_wait_xcnt 0x0
	s_add_nc_u64 s[16:17], s[10:11], s[12:13]
	s_add_nc_u64 s[12:13], s[12:13], 1
	global_load_u8 v2, v3, s[16:17]
	s_cmp_lg_u32 s14, s12
	s_wait_loadcnt 0x0
	v_and_b32_e32 v2, 0xffff, v2
	s_delay_alu instid0(VALU_DEP_1) | instskip(SKIP_1) | instid1(VALU_DEP_1)
	v_lshlrev_b64_e32 v[12:13], s2, v[2:3]
	s_add_nc_u64 s[2:3], s[2:3], 8
	v_or_b32_e32 v10, v12, v10
	s_delay_alu instid0(VALU_DEP_2)
	v_or_b32_e32 v11, v13, v11
	s_cbranch_scc1 .LBB5_39
.LBB5_40:                               ;   in Loop: Header=BB5_29 Depth=1
	s_wait_xcnt 0x0
	s_mov_b64 s[2:3], s[10:11]
	s_mov_b32 s15, 0
	s_cbranch_execz .LBB5_42
	s_branch .LBB5_43
.LBB5_41:                               ;   in Loop: Header=BB5_29 Depth=1
	s_add_nc_u64 s[2:3], s[10:11], 8
	s_wait_xcnt 0x0
                                        ; implicit-def: $vgpr10_vgpr11
	s_mov_b32 s15, 0
.LBB5_42:                               ;   in Loop: Header=BB5_29 Depth=1
	global_load_b64 v[10:11], v3, s[10:11]
	s_add_co_i32 s15, s14, -8
.LBB5_43:                               ;   in Loop: Header=BB5_29 Depth=1
	s_delay_alu instid0(SALU_CYCLE_1)
	s_cmp_gt_u32 s15, 7
	s_cbranch_scc1 .LBB5_48
; %bb.44:                               ;   in Loop: Header=BB5_29 Depth=1
	v_mov_b64_e32 v[12:13], 0
	s_cmp_eq_u32 s15, 0
	s_cbranch_scc1 .LBB5_47
; %bb.45:                               ;   in Loop: Header=BB5_29 Depth=1
	s_wait_xcnt 0x0
	s_mov_b64 s[10:11], 0
	s_mov_b64 s[12:13], 0
.LBB5_46:                               ;   Parent Loop BB5_29 Depth=1
                                        ; =>  This Inner Loop Header: Depth=2
	s_wait_xcnt 0x0
	s_add_nc_u64 s[16:17], s[2:3], s[12:13]
	s_add_nc_u64 s[12:13], s[12:13], 1
	global_load_u8 v2, v3, s[16:17]
	s_cmp_lg_u32 s15, s12
	s_wait_loadcnt 0x0
	v_and_b32_e32 v2, 0xffff, v2
	s_delay_alu instid0(VALU_DEP_1) | instskip(SKIP_1) | instid1(VALU_DEP_1)
	v_lshlrev_b64_e32 v[14:15], s10, v[2:3]
	s_add_nc_u64 s[10:11], s[10:11], 8
	v_or_b32_e32 v12, v14, v12
	s_delay_alu instid0(VALU_DEP_2)
	v_or_b32_e32 v13, v15, v13
	s_cbranch_scc1 .LBB5_46
.LBB5_47:                               ;   in Loop: Header=BB5_29 Depth=1
	s_wait_xcnt 0x0
	s_mov_b64 s[10:11], s[2:3]
	s_mov_b32 s14, 0
	s_cbranch_execz .LBB5_49
	s_branch .LBB5_50
.LBB5_48:                               ;   in Loop: Header=BB5_29 Depth=1
	s_wait_xcnt 0x0
	s_add_nc_u64 s[10:11], s[2:3], 8
	s_mov_b32 s14, 0
.LBB5_49:                               ;   in Loop: Header=BB5_29 Depth=1
	global_load_b64 v[12:13], v3, s[2:3]
	s_add_co_i32 s14, s15, -8
.LBB5_50:                               ;   in Loop: Header=BB5_29 Depth=1
	s_delay_alu instid0(SALU_CYCLE_1)
	s_cmp_gt_u32 s14, 7
	s_cbranch_scc1 .LBB5_55
; %bb.51:                               ;   in Loop: Header=BB5_29 Depth=1
	v_mov_b64_e32 v[14:15], 0
	s_cmp_eq_u32 s14, 0
	s_cbranch_scc1 .LBB5_54
; %bb.52:                               ;   in Loop: Header=BB5_29 Depth=1
	s_wait_xcnt 0x0
	s_mov_b64 s[2:3], 0
	s_mov_b64 s[12:13], 0
.LBB5_53:                               ;   Parent Loop BB5_29 Depth=1
                                        ; =>  This Inner Loop Header: Depth=2
	s_wait_xcnt 0x0
	s_add_nc_u64 s[16:17], s[10:11], s[12:13]
	s_add_nc_u64 s[12:13], s[12:13], 1
	global_load_u8 v2, v3, s[16:17]
	s_cmp_lg_u32 s14, s12
	s_wait_loadcnt 0x0
	v_and_b32_e32 v2, 0xffff, v2
	s_delay_alu instid0(VALU_DEP_1) | instskip(SKIP_1) | instid1(VALU_DEP_1)
	v_lshlrev_b64_e32 v[16:17], s2, v[2:3]
	s_add_nc_u64 s[2:3], s[2:3], 8
	v_or_b32_e32 v14, v16, v14
	s_delay_alu instid0(VALU_DEP_2)
	v_or_b32_e32 v15, v17, v15
	s_cbranch_scc1 .LBB5_53
.LBB5_54:                               ;   in Loop: Header=BB5_29 Depth=1
	s_wait_xcnt 0x0
	s_mov_b64 s[2:3], s[10:11]
	s_mov_b32 s15, 0
	s_cbranch_execz .LBB5_56
	s_branch .LBB5_57
.LBB5_55:                               ;   in Loop: Header=BB5_29 Depth=1
	s_wait_xcnt 0x0
	s_add_nc_u64 s[2:3], s[10:11], 8
                                        ; implicit-def: $vgpr14_vgpr15
	s_mov_b32 s15, 0
.LBB5_56:                               ;   in Loop: Header=BB5_29 Depth=1
	global_load_b64 v[14:15], v3, s[10:11]
	s_add_co_i32 s15, s14, -8
.LBB5_57:                               ;   in Loop: Header=BB5_29 Depth=1
	s_delay_alu instid0(SALU_CYCLE_1)
	s_cmp_gt_u32 s15, 7
	s_cbranch_scc1 .LBB5_62
; %bb.58:                               ;   in Loop: Header=BB5_29 Depth=1
	v_mov_b64_e32 v[16:17], 0
	s_cmp_eq_u32 s15, 0
	s_cbranch_scc1 .LBB5_61
; %bb.59:                               ;   in Loop: Header=BB5_29 Depth=1
	s_wait_xcnt 0x0
	s_mov_b64 s[10:11], 0
	s_mov_b64 s[12:13], 0
.LBB5_60:                               ;   Parent Loop BB5_29 Depth=1
                                        ; =>  This Inner Loop Header: Depth=2
	s_wait_xcnt 0x0
	s_add_nc_u64 s[16:17], s[2:3], s[12:13]
	s_add_nc_u64 s[12:13], s[12:13], 1
	global_load_u8 v2, v3, s[16:17]
	s_cmp_lg_u32 s15, s12
	s_wait_loadcnt 0x0
	v_and_b32_e32 v2, 0xffff, v2
	s_delay_alu instid0(VALU_DEP_1) | instskip(SKIP_1) | instid1(VALU_DEP_1)
	v_lshlrev_b64_e32 v[18:19], s10, v[2:3]
	s_add_nc_u64 s[10:11], s[10:11], 8
	v_or_b32_e32 v16, v18, v16
	s_delay_alu instid0(VALU_DEP_2)
	v_or_b32_e32 v17, v19, v17
	s_cbranch_scc1 .LBB5_60
.LBB5_61:                               ;   in Loop: Header=BB5_29 Depth=1
	s_wait_xcnt 0x0
	s_mov_b64 s[10:11], s[2:3]
	s_mov_b32 s14, 0
	s_cbranch_execz .LBB5_63
	s_branch .LBB5_64
.LBB5_62:                               ;   in Loop: Header=BB5_29 Depth=1
	s_wait_xcnt 0x0
	s_add_nc_u64 s[10:11], s[2:3], 8
	s_mov_b32 s14, 0
.LBB5_63:                               ;   in Loop: Header=BB5_29 Depth=1
	global_load_b64 v[16:17], v3, s[2:3]
	s_add_co_i32 s14, s15, -8
.LBB5_64:                               ;   in Loop: Header=BB5_29 Depth=1
	s_delay_alu instid0(SALU_CYCLE_1)
	s_cmp_gt_u32 s14, 7
	s_cbranch_scc1 .LBB5_69
; %bb.65:                               ;   in Loop: Header=BB5_29 Depth=1
	v_mov_b64_e32 v[18:19], 0
	s_cmp_eq_u32 s14, 0
	s_cbranch_scc1 .LBB5_68
; %bb.66:                               ;   in Loop: Header=BB5_29 Depth=1
	s_wait_xcnt 0x0
	s_mov_b64 s[2:3], 0
	s_mov_b64 s[12:13], 0
.LBB5_67:                               ;   Parent Loop BB5_29 Depth=1
                                        ; =>  This Inner Loop Header: Depth=2
	s_wait_xcnt 0x0
	s_add_nc_u64 s[16:17], s[10:11], s[12:13]
	s_add_nc_u64 s[12:13], s[12:13], 1
	global_load_u8 v2, v3, s[16:17]
	s_cmp_lg_u32 s14, s12
	s_wait_loadcnt 0x0
	v_and_b32_e32 v2, 0xffff, v2
	s_delay_alu instid0(VALU_DEP_1) | instskip(SKIP_1) | instid1(VALU_DEP_1)
	v_lshlrev_b64_e32 v[20:21], s2, v[2:3]
	s_add_nc_u64 s[2:3], s[2:3], 8
	v_or_b32_e32 v18, v20, v18
	s_delay_alu instid0(VALU_DEP_2)
	v_or_b32_e32 v19, v21, v19
	s_cbranch_scc1 .LBB5_67
.LBB5_68:                               ;   in Loop: Header=BB5_29 Depth=1
	s_wait_xcnt 0x0
	s_mov_b64 s[2:3], s[10:11]
	s_mov_b32 s15, 0
	s_cbranch_execz .LBB5_70
	s_branch .LBB5_71
.LBB5_69:                               ;   in Loop: Header=BB5_29 Depth=1
	s_wait_xcnt 0x0
	s_add_nc_u64 s[2:3], s[10:11], 8
                                        ; implicit-def: $vgpr18_vgpr19
	s_mov_b32 s15, 0
.LBB5_70:                               ;   in Loop: Header=BB5_29 Depth=1
	global_load_b64 v[18:19], v3, s[10:11]
	s_add_co_i32 s15, s14, -8
.LBB5_71:                               ;   in Loop: Header=BB5_29 Depth=1
	s_delay_alu instid0(SALU_CYCLE_1)
	s_cmp_gt_u32 s15, 7
	s_cbranch_scc1 .LBB5_76
; %bb.72:                               ;   in Loop: Header=BB5_29 Depth=1
	v_mov_b64_e32 v[20:21], 0
	s_cmp_eq_u32 s15, 0
	s_cbranch_scc1 .LBB5_75
; %bb.73:                               ;   in Loop: Header=BB5_29 Depth=1
	s_wait_xcnt 0x0
	s_mov_b64 s[10:11], 0
	s_mov_b64 s[12:13], s[2:3]
.LBB5_74:                               ;   Parent Loop BB5_29 Depth=1
                                        ; =>  This Inner Loop Header: Depth=2
	global_load_u8 v2, v3, s[12:13]
	s_add_co_i32 s15, s15, -1
	s_wait_xcnt 0x0
	s_add_nc_u64 s[12:13], s[12:13], 1
	s_cmp_lg_u32 s15, 0
	s_wait_loadcnt 0x0
	v_and_b32_e32 v2, 0xffff, v2
	s_delay_alu instid0(VALU_DEP_1) | instskip(SKIP_1) | instid1(VALU_DEP_1)
	v_lshlrev_b64_e32 v[22:23], s10, v[2:3]
	s_add_nc_u64 s[10:11], s[10:11], 8
	v_or_b32_e32 v20, v22, v20
	s_delay_alu instid0(VALU_DEP_2)
	v_or_b32_e32 v21, v23, v21
	s_cbranch_scc1 .LBB5_74
.LBB5_75:                               ;   in Loop: Header=BB5_29 Depth=1
	s_wait_xcnt 0x0
	s_cbranch_execz .LBB5_77
	s_branch .LBB5_78
.LBB5_76:                               ;   in Loop: Header=BB5_29 Depth=1
	s_wait_xcnt 0x0
.LBB5_77:                               ;   in Loop: Header=BB5_29 Depth=1
	global_load_b64 v[20:21], v3, s[2:3]
.LBB5_78:                               ;   in Loop: Header=BB5_29 Depth=1
	s_wait_xcnt 0x0
	v_readfirstlane_b32 s2, v56
	v_mov_b64_e32 v[26:27], 0
	s_delay_alu instid0(VALU_DEP_2)
	v_cmp_eq_u32_e64 s2, s2, v56
	s_and_saveexec_b32 s3, s2
	s_cbranch_execz .LBB5_84
; %bb.79:                               ;   in Loop: Header=BB5_29 Depth=1
	global_load_b64 v[24:25], v3, s[34:35] offset:24 scope:SCOPE_SYS
	s_wait_loadcnt 0x0
	global_inv scope:SCOPE_SYS
	s_clause 0x1
	global_load_b64 v[22:23], v3, s[34:35] offset:40
	global_load_b64 v[26:27], v3, s[34:35]
	s_mov_b32 s10, exec_lo
	s_wait_loadcnt 0x1
	v_and_b32_e32 v22, v22, v24
	v_and_b32_e32 v23, v23, v25
	s_delay_alu instid0(VALU_DEP_1) | instskip(SKIP_1) | instid1(VALU_DEP_1)
	v_mul_u64_e32 v[22:23], 24, v[22:23]
	s_wait_loadcnt 0x0
	v_add_nc_u64_e32 v[22:23], v[26:27], v[22:23]
	global_load_b64 v[22:23], v[22:23], off scope:SCOPE_SYS
	s_wait_xcnt 0x0
	s_wait_loadcnt 0x0
	global_atomic_cmpswap_b64 v[26:27], v3, v[22:25], s[34:35] offset:24 th:TH_ATOMIC_RETURN scope:SCOPE_SYS
	s_wait_loadcnt 0x0
	global_inv scope:SCOPE_SYS
	s_wait_xcnt 0x0
	v_cmpx_ne_u64_e64 v[26:27], v[24:25]
	s_cbranch_execz .LBB5_83
; %bb.80:                               ;   in Loop: Header=BB5_29 Depth=1
	s_mov_b32 s11, 0
.LBB5_81:                               ;   Parent Loop BB5_29 Depth=1
                                        ; =>  This Inner Loop Header: Depth=2
	s_sleep 1
	s_clause 0x1
	global_load_b64 v[22:23], v3, s[34:35] offset:40
	global_load_b64 v[28:29], v3, s[34:35]
	v_mov_b64_e32 v[24:25], v[26:27]
	s_wait_loadcnt 0x1
	s_delay_alu instid0(VALU_DEP_1) | instskip(SKIP_1) | instid1(VALU_DEP_1)
	v_and_b32_e32 v2, v22, v24
	s_wait_loadcnt 0x0
	v_mad_nc_u64_u32 v[26:27], v2, 24, v[28:29]
	s_delay_alu instid0(VALU_DEP_3) | instskip(NEXT) | instid1(VALU_DEP_1)
	v_and_b32_e32 v2, v23, v25
	v_mad_u32 v27, v2, 24, v27
	global_load_b64 v[22:23], v[26:27], off scope:SCOPE_SYS
	s_wait_xcnt 0x0
	s_wait_loadcnt 0x0
	global_atomic_cmpswap_b64 v[26:27], v3, v[22:25], s[34:35] offset:24 th:TH_ATOMIC_RETURN scope:SCOPE_SYS
	s_wait_loadcnt 0x0
	global_inv scope:SCOPE_SYS
	v_cmp_eq_u64_e32 vcc_lo, v[26:27], v[24:25]
	s_or_b32 s11, vcc_lo, s11
	s_wait_xcnt 0x0
	s_and_not1_b32 exec_lo, exec_lo, s11
	s_cbranch_execnz .LBB5_81
; %bb.82:                               ;   in Loop: Header=BB5_29 Depth=1
	s_or_b32 exec_lo, exec_lo, s11
.LBB5_83:                               ;   in Loop: Header=BB5_29 Depth=1
	s_delay_alu instid0(SALU_CYCLE_1)
	s_or_b32 exec_lo, exec_lo, s10
.LBB5_84:                               ;   in Loop: Header=BB5_29 Depth=1
	s_delay_alu instid0(SALU_CYCLE_1)
	s_or_b32 exec_lo, exec_lo, s3
	s_clause 0x1
	global_load_b64 v[28:29], v3, s[34:35] offset:40
	global_load_b128 v[22:25], v3, s[34:35]
	v_readfirstlane_b32 s10, v26
	v_readfirstlane_b32 s11, v27
	s_mov_b32 s3, exec_lo
	s_wait_loadcnt 0x1
	v_and_b32_e32 v28, s10, v28
	v_and_b32_e32 v29, s11, v29
	s_delay_alu instid0(VALU_DEP_1) | instskip(SKIP_1) | instid1(VALU_DEP_1)
	v_mul_u64_e32 v[26:27], 24, v[28:29]
	s_wait_loadcnt 0x0
	v_add_nc_u64_e32 v[26:27], v[22:23], v[26:27]
	s_wait_xcnt 0x0
	s_and_saveexec_b32 s12, s2
	s_cbranch_execz .LBB5_86
; %bb.85:                               ;   in Loop: Header=BB5_29 Depth=1
	v_mov_b32_e32 v2, s3
	global_store_b128 v[26:27], v[2:5], off offset:8
.LBB5_86:                               ;   in Loop: Header=BB5_29 Depth=1
	s_wait_xcnt 0x0
	s_or_b32 exec_lo, exec_lo, s12
	v_cmp_gt_u64_e64 s3, s[6:7], 56
	v_lshlrev_b64_e32 v[28:29], 12, v[28:29]
	v_and_b32_e32 v2, 0xffffff1f, v6
	s_and_b32 s3, s3, exec_lo
	s_delay_alu instid0(VALU_DEP_2) | instskip(SKIP_4) | instid1(VALU_DEP_2)
	v_add_nc_u64_e32 v[24:25], v[24:25], v[28:29]
	s_cselect_b32 s3, 0, 2
	s_lshl_b32 s12, s8, 2
	v_or_b32_e32 v2, s3, v2
	s_add_co_i32 s3, s12, 28
	v_readfirstlane_b32 s12, v24
	s_delay_alu instid0(VALU_DEP_3) | instskip(NEXT) | instid1(VALU_DEP_3)
	v_readfirstlane_b32 s13, v25
	v_and_or_b32 v6, 0x1e0, s3, v2
	s_clause 0x3
	global_store_b128 v42, v[6:9], s[12:13]
	global_store_b128 v42, v[10:13], s[12:13] offset:16
	global_store_b128 v42, v[14:17], s[12:13] offset:32
	;; [unrolled: 1-line block ×3, first 2 shown]
	s_wait_xcnt 0x0
	s_and_saveexec_b32 s3, s2
	s_cbranch_execz .LBB5_94
; %bb.87:                               ;   in Loop: Header=BB5_29 Depth=1
	s_clause 0x1
	global_load_b64 v[14:15], v3, s[34:35] offset:32 scope:SCOPE_SYS
	global_load_b64 v[6:7], v3, s[34:35] offset:40
	s_mov_b32 s12, exec_lo
	v_dual_mov_b32 v12, s10 :: v_dual_mov_b32 v13, s11
	s_wait_loadcnt 0x0
	v_and_b32_e32 v7, s11, v7
	v_and_b32_e32 v6, s10, v6
	s_delay_alu instid0(VALU_DEP_1) | instskip(NEXT) | instid1(VALU_DEP_1)
	v_mul_u64_e32 v[6:7], 24, v[6:7]
	v_add_nc_u64_e32 v[10:11], v[22:23], v[6:7]
	global_store_b64 v[10:11], v[14:15], off
	global_wb scope:SCOPE_SYS
	s_wait_storecnt 0x0
	s_wait_xcnt 0x0
	global_atomic_cmpswap_b64 v[8:9], v3, v[12:15], s[34:35] offset:32 th:TH_ATOMIC_RETURN scope:SCOPE_SYS
	s_wait_loadcnt 0x0
	v_cmpx_ne_u64_e64 v[8:9], v[14:15]
	s_cbranch_execz .LBB5_90
; %bb.88:                               ;   in Loop: Header=BB5_29 Depth=1
	s_mov_b32 s13, 0
.LBB5_89:                               ;   Parent Loop BB5_29 Depth=1
                                        ; =>  This Inner Loop Header: Depth=2
	v_dual_mov_b32 v6, s10 :: v_dual_mov_b32 v7, s11
	s_sleep 1
	global_store_b64 v[10:11], v[8:9], off
	global_wb scope:SCOPE_SYS
	s_wait_storecnt 0x0
	s_wait_xcnt 0x0
	global_atomic_cmpswap_b64 v[6:7], v3, v[6:9], s[34:35] offset:32 th:TH_ATOMIC_RETURN scope:SCOPE_SYS
	s_wait_loadcnt 0x0
	v_cmp_eq_u64_e32 vcc_lo, v[6:7], v[8:9]
	v_mov_b64_e32 v[8:9], v[6:7]
	s_or_b32 s13, vcc_lo, s13
	s_delay_alu instid0(SALU_CYCLE_1)
	s_and_not1_b32 exec_lo, exec_lo, s13
	s_cbranch_execnz .LBB5_89
.LBB5_90:                               ;   in Loop: Header=BB5_29 Depth=1
	s_or_b32 exec_lo, exec_lo, s12
	global_load_b64 v[6:7], v3, s[34:35] offset:16
	s_mov_b32 s13, exec_lo
	s_mov_b32 s12, exec_lo
	v_mbcnt_lo_u32_b32 v2, s13, 0
	s_wait_xcnt 0x0
	s_delay_alu instid0(VALU_DEP_1)
	v_cmpx_eq_u32_e32 0, v2
	s_cbranch_execz .LBB5_92
; %bb.91:                               ;   in Loop: Header=BB5_29 Depth=1
	s_bcnt1_i32_b32 s13, s13
	s_delay_alu instid0(SALU_CYCLE_1)
	v_mov_b32_e32 v2, s13
	global_wb scope:SCOPE_SYS
	s_wait_loadcnt 0x0
	s_wait_storecnt 0x0
	global_atomic_add_u64 v[6:7], v[2:3], off offset:8 scope:SCOPE_SYS
.LBB5_92:                               ;   in Loop: Header=BB5_29 Depth=1
	s_wait_xcnt 0x0
	s_or_b32 exec_lo, exec_lo, s12
	s_wait_loadcnt 0x0
	global_load_b64 v[8:9], v[6:7], off offset:16
	s_wait_loadcnt 0x0
	v_cmp_eq_u64_e32 vcc_lo, 0, v[8:9]
	s_cbranch_vccnz .LBB5_94
; %bb.93:                               ;   in Loop: Header=BB5_29 Depth=1
	global_load_b32 v2, v[6:7], off offset:24
	s_wait_loadcnt 0x0
	v_readfirstlane_b32 s12, v2
	global_wb scope:SCOPE_SYS
	s_wait_storecnt 0x0
	s_wait_xcnt 0x0
	global_store_b64 v[8:9], v[2:3], off scope:SCOPE_SYS
	s_and_b32 m0, s12, 0xffffff
	s_sendmsg sendmsg(MSG_INTERRUPT)
.LBB5_94:                               ;   in Loop: Header=BB5_29 Depth=1
	s_wait_xcnt 0x0
	s_or_b32 exec_lo, exec_lo, s3
	v_mov_b32_e32 v43, v3
	s_delay_alu instid0(VALU_DEP_1)
	v_add_nc_u64_e32 v[6:7], v[24:25], v[42:43]
	s_branch .LBB5_98
.LBB5_95:                               ;   in Loop: Header=BB5_98 Depth=2
	s_wait_xcnt 0x0
	s_or_b32 exec_lo, exec_lo, s3
	s_delay_alu instid0(VALU_DEP_1)
	v_readfirstlane_b32 s3, v2
	s_cmp_eq_u32 s3, 0
	s_cbranch_scc1 .LBB5_97
; %bb.96:                               ;   in Loop: Header=BB5_98 Depth=2
	s_sleep 1
	s_cbranch_execnz .LBB5_98
	s_branch .LBB5_100
.LBB5_97:                               ;   in Loop: Header=BB5_29 Depth=1
	s_branch .LBB5_100
.LBB5_98:                               ;   Parent Loop BB5_29 Depth=1
                                        ; =>  This Inner Loop Header: Depth=2
	v_mov_b32_e32 v2, 1
	s_and_saveexec_b32 s3, s2
	s_cbranch_execz .LBB5_95
; %bb.99:                               ;   in Loop: Header=BB5_98 Depth=2
	global_load_b32 v2, v[26:27], off offset:20 scope:SCOPE_SYS
	s_wait_loadcnt 0x0
	global_inv scope:SCOPE_SYS
	v_and_b32_e32 v2, 1, v2
	s_branch .LBB5_95
.LBB5_100:                              ;   in Loop: Header=BB5_29 Depth=1
	global_load_b128 v[6:9], v[6:7], off
	s_wait_xcnt 0x0
	s_and_saveexec_b32 s12, s2
	s_cbranch_execz .LBB5_28
; %bb.101:                              ;   in Loop: Header=BB5_29 Depth=1
	s_wait_loadcnt 0x0
	s_clause 0x2
	global_load_b64 v[8:9], v3, s[34:35] offset:40
	global_load_b64 v[16:17], v3, s[34:35] offset:24 scope:SCOPE_SYS
	global_load_b64 v[10:11], v3, s[34:35]
	s_wait_loadcnt 0x2
	v_readfirstlane_b32 s14, v8
	v_readfirstlane_b32 s15, v9
	s_add_nc_u64 s[2:3], s[14:15], 1
	s_delay_alu instid0(SALU_CYCLE_1) | instskip(NEXT) | instid1(SALU_CYCLE_1)
	s_add_nc_u64 s[10:11], s[2:3], s[10:11]
	s_cmp_eq_u64 s[10:11], 0
	s_cselect_b32 s3, s3, s11
	s_cselect_b32 s2, s2, s10
	s_delay_alu instid0(SALU_CYCLE_1) | instskip(SKIP_1) | instid1(SALU_CYCLE_1)
	v_dual_mov_b32 v15, s3 :: v_dual_mov_b32 v14, s2
	s_and_b64 s[10:11], s[2:3], s[14:15]
	s_mul_u64 s[10:11], s[10:11], 24
	s_wait_loadcnt 0x0
	v_add_nc_u64_e32 v[12:13], s[10:11], v[10:11]
	global_store_b64 v[12:13], v[16:17], off
	global_wb scope:SCOPE_SYS
	s_wait_storecnt 0x0
	s_wait_xcnt 0x0
	global_atomic_cmpswap_b64 v[10:11], v3, v[14:17], s[34:35] offset:24 th:TH_ATOMIC_RETURN scope:SCOPE_SYS
	s_wait_loadcnt 0x0
	v_cmp_ne_u64_e32 vcc_lo, v[10:11], v[16:17]
	s_and_b32 exec_lo, exec_lo, vcc_lo
	s_cbranch_execz .LBB5_28
; %bb.102:                              ;   in Loop: Header=BB5_29 Depth=1
	s_mov_b32 s10, 0
.LBB5_103:                              ;   Parent Loop BB5_29 Depth=1
                                        ; =>  This Inner Loop Header: Depth=2
	v_dual_mov_b32 v8, s2 :: v_dual_mov_b32 v9, s3
	s_sleep 1
	global_store_b64 v[12:13], v[10:11], off
	global_wb scope:SCOPE_SYS
	s_wait_storecnt 0x0
	s_wait_xcnt 0x0
	global_atomic_cmpswap_b64 v[8:9], v3, v[8:11], s[34:35] offset:24 th:TH_ATOMIC_RETURN scope:SCOPE_SYS
	s_wait_loadcnt 0x0
	v_cmp_eq_u64_e32 vcc_lo, v[8:9], v[10:11]
	v_mov_b64_e32 v[10:11], v[8:9]
	s_or_b32 s10, vcc_lo, s10
	s_delay_alu instid0(SALU_CYCLE_1)
	s_and_not1_b32 exec_lo, exec_lo, s10
	s_cbranch_execnz .LBB5_103
	s_branch .LBB5_28
.LBB5_104:
	s_branch .LBB5_133
.LBB5_105:
	s_cbranch_execz .LBB5_133
; %bb.106:
	v_readfirstlane_b32 s2, v56
	s_wait_loadcnt 0x0
	v_mov_b64_e32 v[8:9], 0
	s_delay_alu instid0(VALU_DEP_2)
	v_cmp_eq_u32_e64 s2, s2, v56
	s_and_saveexec_b32 s3, s2
	s_cbranch_execz .LBB5_112
; %bb.107:
	v_mov_b32_e32 v2, 0
	s_mov_b32 s4, exec_lo
	global_load_b64 v[6:7], v2, s[34:35] offset:24 scope:SCOPE_SYS
	s_wait_loadcnt 0x0
	global_inv scope:SCOPE_SYS
	s_clause 0x1
	global_load_b64 v[4:5], v2, s[34:35] offset:40
	global_load_b64 v[8:9], v2, s[34:35]
	s_wait_loadcnt 0x1
	v_and_b32_e32 v4, v4, v6
	v_and_b32_e32 v5, v5, v7
	s_delay_alu instid0(VALU_DEP_1) | instskip(SKIP_1) | instid1(VALU_DEP_1)
	v_mul_u64_e32 v[4:5], 24, v[4:5]
	s_wait_loadcnt 0x0
	v_add_nc_u64_e32 v[4:5], v[8:9], v[4:5]
	global_load_b64 v[4:5], v[4:5], off scope:SCOPE_SYS
	s_wait_xcnt 0x0
	s_wait_loadcnt 0x0
	global_atomic_cmpswap_b64 v[8:9], v2, v[4:7], s[34:35] offset:24 th:TH_ATOMIC_RETURN scope:SCOPE_SYS
	s_wait_loadcnt 0x0
	global_inv scope:SCOPE_SYS
	s_wait_xcnt 0x0
	v_cmpx_ne_u64_e64 v[8:9], v[6:7]
	s_cbranch_execz .LBB5_111
; %bb.108:
	s_mov_b32 s5, 0
.LBB5_109:                              ; =>This Inner Loop Header: Depth=1
	s_sleep 1
	s_clause 0x1
	global_load_b64 v[4:5], v2, s[34:35] offset:40
	global_load_b64 v[10:11], v2, s[34:35]
	v_mov_b64_e32 v[6:7], v[8:9]
	s_wait_loadcnt 0x1
	s_delay_alu instid0(VALU_DEP_1) | instskip(SKIP_1) | instid1(VALU_DEP_1)
	v_and_b32_e32 v3, v4, v6
	s_wait_loadcnt 0x0
	v_mad_nc_u64_u32 v[8:9], v3, 24, v[10:11]
	s_delay_alu instid0(VALU_DEP_3) | instskip(NEXT) | instid1(VALU_DEP_1)
	v_and_b32_e32 v3, v5, v7
	v_mad_u32 v9, v3, 24, v9
	global_load_b64 v[4:5], v[8:9], off scope:SCOPE_SYS
	s_wait_xcnt 0x0
	s_wait_loadcnt 0x0
	global_atomic_cmpswap_b64 v[8:9], v2, v[4:7], s[34:35] offset:24 th:TH_ATOMIC_RETURN scope:SCOPE_SYS
	s_wait_loadcnt 0x0
	global_inv scope:SCOPE_SYS
	v_cmp_eq_u64_e32 vcc_lo, v[8:9], v[6:7]
	s_or_b32 s5, vcc_lo, s5
	s_wait_xcnt 0x0
	s_and_not1_b32 exec_lo, exec_lo, s5
	s_cbranch_execnz .LBB5_109
; %bb.110:
	s_or_b32 exec_lo, exec_lo, s5
.LBB5_111:
	s_delay_alu instid0(SALU_CYCLE_1)
	s_or_b32 exec_lo, exec_lo, s4
.LBB5_112:
	s_delay_alu instid0(SALU_CYCLE_1)
	s_or_b32 exec_lo, exec_lo, s3
	v_readfirstlane_b32 s4, v8
	v_mov_b32_e32 v2, 0
	v_readfirstlane_b32 s5, v9
	s_mov_b32 s3, exec_lo
	s_clause 0x1
	global_load_b64 v[10:11], v2, s[34:35] offset:40
	global_load_b128 v[4:7], v2, s[34:35]
	s_wait_loadcnt 0x1
	v_and_b32_e32 v10, s4, v10
	v_and_b32_e32 v11, s5, v11
	s_delay_alu instid0(VALU_DEP_1) | instskip(SKIP_1) | instid1(VALU_DEP_1)
	v_mul_u64_e32 v[8:9], 24, v[10:11]
	s_wait_loadcnt 0x0
	v_add_nc_u64_e32 v[8:9], v[4:5], v[8:9]
	s_wait_xcnt 0x0
	s_and_saveexec_b32 s6, s2
	s_cbranch_execz .LBB5_114
; %bb.113:
	v_mov_b64_e32 v[14:15], 0x100000002
	v_dual_mov_b32 v12, s3 :: v_dual_mov_b32 v13, v2
	global_store_b128 v[8:9], v[12:15], off offset:8
.LBB5_114:
	s_wait_xcnt 0x0
	s_or_b32 exec_lo, exec_lo, s6
	v_lshlrev_b64_e32 v[10:11], 12, v[10:11]
	s_mov_b32 s8, 0
	v_and_or_b32 v0, 0xffffff1d, v0, 34
	s_mov_b32 s10, s8
	s_mov_b32 s11, s8
	;; [unrolled: 1-line block ×3, first 2 shown]
	v_mov_b32_e32 v3, v2
	v_add_nc_u64_e32 v[6:7], v[6:7], v[10:11]
	v_mov_b64_e32 v[12:13], s[10:11]
	v_mov_b64_e32 v[10:11], s[8:9]
	s_delay_alu instid0(VALU_DEP_3) | instskip(NEXT) | instid1(VALU_DEP_4)
	v_readfirstlane_b32 s6, v6
	v_readfirstlane_b32 s7, v7
	s_clause 0x3
	global_store_b128 v42, v[0:3], s[6:7]
	global_store_b128 v42, v[10:13], s[6:7] offset:16
	global_store_b128 v42, v[10:13], s[6:7] offset:32
	;; [unrolled: 1-line block ×3, first 2 shown]
	s_wait_xcnt 0x0
	s_and_saveexec_b32 s3, s2
	s_cbranch_execz .LBB5_122
; %bb.115:
	v_dual_mov_b32 v6, 0 :: v_dual_mov_b32 v11, s5
	s_mov_b32 s6, exec_lo
	s_clause 0x1
	global_load_b64 v[12:13], v6, s[34:35] offset:32 scope:SCOPE_SYS
	global_load_b64 v[0:1], v6, s[34:35] offset:40
	s_wait_loadcnt 0x0
	v_dual_mov_b32 v10, s4 :: v_dual_bitop2_b32 v1, s5, v1 bitop3:0x40
	v_and_b32_e32 v0, s4, v0
	s_delay_alu instid0(VALU_DEP_1) | instskip(NEXT) | instid1(VALU_DEP_1)
	v_mul_u64_e32 v[0:1], 24, v[0:1]
	v_add_nc_u64_e32 v[4:5], v[4:5], v[0:1]
	global_store_b64 v[4:5], v[12:13], off
	global_wb scope:SCOPE_SYS
	s_wait_storecnt 0x0
	s_wait_xcnt 0x0
	global_atomic_cmpswap_b64 v[2:3], v6, v[10:13], s[34:35] offset:32 th:TH_ATOMIC_RETURN scope:SCOPE_SYS
	s_wait_loadcnt 0x0
	v_cmpx_ne_u64_e64 v[2:3], v[12:13]
	s_cbranch_execz .LBB5_118
; %bb.116:
	s_mov_b32 s7, 0
.LBB5_117:                              ; =>This Inner Loop Header: Depth=1
	v_dual_mov_b32 v0, s4 :: v_dual_mov_b32 v1, s5
	s_sleep 1
	global_store_b64 v[4:5], v[2:3], off
	global_wb scope:SCOPE_SYS
	s_wait_storecnt 0x0
	s_wait_xcnt 0x0
	global_atomic_cmpswap_b64 v[0:1], v6, v[0:3], s[34:35] offset:32 th:TH_ATOMIC_RETURN scope:SCOPE_SYS
	s_wait_loadcnt 0x0
	v_cmp_eq_u64_e32 vcc_lo, v[0:1], v[2:3]
	v_mov_b64_e32 v[2:3], v[0:1]
	s_or_b32 s7, vcc_lo, s7
	s_delay_alu instid0(SALU_CYCLE_1)
	s_and_not1_b32 exec_lo, exec_lo, s7
	s_cbranch_execnz .LBB5_117
.LBB5_118:
	s_or_b32 exec_lo, exec_lo, s6
	v_mov_b32_e32 v3, 0
	s_mov_b32 s7, exec_lo
	s_mov_b32 s6, exec_lo
	v_mbcnt_lo_u32_b32 v2, s7, 0
	global_load_b64 v[0:1], v3, s[34:35] offset:16
	s_wait_xcnt 0x0
	v_cmpx_eq_u32_e32 0, v2
	s_cbranch_execz .LBB5_120
; %bb.119:
	s_bcnt1_i32_b32 s7, s7
	s_delay_alu instid0(SALU_CYCLE_1)
	v_mov_b32_e32 v2, s7
	global_wb scope:SCOPE_SYS
	s_wait_loadcnt 0x0
	s_wait_storecnt 0x0
	global_atomic_add_u64 v[0:1], v[2:3], off offset:8 scope:SCOPE_SYS
.LBB5_120:
	s_wait_xcnt 0x0
	s_or_b32 exec_lo, exec_lo, s6
	s_wait_loadcnt 0x0
	global_load_b64 v[2:3], v[0:1], off offset:16
	s_wait_loadcnt 0x0
	v_cmp_eq_u64_e32 vcc_lo, 0, v[2:3]
	s_cbranch_vccnz .LBB5_122
; %bb.121:
	global_load_b32 v0, v[0:1], off offset:24
	s_wait_xcnt 0x0
	v_mov_b32_e32 v1, 0
	s_wait_loadcnt 0x0
	v_readfirstlane_b32 s6, v0
	global_wb scope:SCOPE_SYS
	s_wait_storecnt 0x0
	global_store_b64 v[2:3], v[0:1], off scope:SCOPE_SYS
	s_and_b32 m0, s6, 0xffffff
	s_sendmsg sendmsg(MSG_INTERRUPT)
.LBB5_122:
	s_wait_xcnt 0x0
	s_or_b32 exec_lo, exec_lo, s3
	s_branch .LBB5_126
.LBB5_123:                              ;   in Loop: Header=BB5_126 Depth=1
	s_wait_xcnt 0x0
	s_or_b32 exec_lo, exec_lo, s3
	s_delay_alu instid0(VALU_DEP_1)
	v_readfirstlane_b32 s3, v0
	s_cmp_eq_u32 s3, 0
	s_cbranch_scc1 .LBB5_125
; %bb.124:                              ;   in Loop: Header=BB5_126 Depth=1
	s_sleep 1
	s_cbranch_execnz .LBB5_126
	s_branch .LBB5_128
.LBB5_125:
	s_branch .LBB5_128
.LBB5_126:                              ; =>This Inner Loop Header: Depth=1
	v_mov_b32_e32 v0, 1
	s_and_saveexec_b32 s3, s2
	s_cbranch_execz .LBB5_123
; %bb.127:                              ;   in Loop: Header=BB5_126 Depth=1
	global_load_b32 v0, v[8:9], off offset:20 scope:SCOPE_SYS
	s_wait_loadcnt 0x0
	global_inv scope:SCOPE_SYS
	v_and_b32_e32 v0, 1, v0
	s_branch .LBB5_123
.LBB5_128:
	s_and_saveexec_b32 s6, s2
	s_cbranch_execz .LBB5_132
; %bb.129:
	v_mov_b32_e32 v6, 0
	s_clause 0x2
	global_load_b64 v[0:1], v6, s[34:35] offset:40
	global_load_b64 v[10:11], v6, s[34:35] offset:24 scope:SCOPE_SYS
	global_load_b64 v[2:3], v6, s[34:35]
	s_wait_loadcnt 0x2
	v_readfirstlane_b32 s8, v0
	v_readfirstlane_b32 s9, v1
	s_add_nc_u64 s[2:3], s[8:9], 1
	s_delay_alu instid0(SALU_CYCLE_1) | instskip(NEXT) | instid1(SALU_CYCLE_1)
	s_add_nc_u64 s[4:5], s[2:3], s[4:5]
	s_cmp_eq_u64 s[4:5], 0
	s_cselect_b32 s3, s3, s5
	s_cselect_b32 s2, s2, s4
	v_mov_b32_e32 v9, s3
	s_and_b64 s[4:5], s[2:3], s[8:9]
	v_mov_b32_e32 v8, s2
	s_mul_u64 s[4:5], s[4:5], 24
	s_wait_loadcnt 0x0
	v_add_nc_u64_e32 v[4:5], s[4:5], v[2:3]
	global_store_b64 v[4:5], v[10:11], off
	global_wb scope:SCOPE_SYS
	s_wait_storecnt 0x0
	s_wait_xcnt 0x0
	global_atomic_cmpswap_b64 v[2:3], v6, v[8:11], s[34:35] offset:24 th:TH_ATOMIC_RETURN scope:SCOPE_SYS
	s_wait_loadcnt 0x0
	v_cmp_ne_u64_e32 vcc_lo, v[2:3], v[10:11]
	s_and_b32 exec_lo, exec_lo, vcc_lo
	s_cbranch_execz .LBB5_132
; %bb.130:
	s_mov_b32 s4, 0
.LBB5_131:                              ; =>This Inner Loop Header: Depth=1
	v_dual_mov_b32 v0, s2 :: v_dual_mov_b32 v1, s3
	s_sleep 1
	global_store_b64 v[4:5], v[2:3], off
	global_wb scope:SCOPE_SYS
	s_wait_storecnt 0x0
	s_wait_xcnt 0x0
	global_atomic_cmpswap_b64 v[0:1], v6, v[0:3], s[34:35] offset:24 th:TH_ATOMIC_RETURN scope:SCOPE_SYS
	s_wait_loadcnt 0x0
	v_cmp_eq_u64_e32 vcc_lo, v[0:1], v[2:3]
	v_mov_b64_e32 v[2:3], v[0:1]
	s_or_b32 s4, vcc_lo, s4
	s_delay_alu instid0(SALU_CYCLE_1)
	s_and_not1_b32 exec_lo, exec_lo, s4
	s_cbranch_execnz .LBB5_131
.LBB5_132:
	s_or_b32 exec_lo, exec_lo, s6
.LBB5_133:
	v_readfirstlane_b32 s2, v56
	v_mov_b64_e32 v[4:5], 0
	s_delay_alu instid0(VALU_DEP_2)
	v_cmp_eq_u32_e64 s2, s2, v56
	s_and_saveexec_b32 s3, s2
	s_cbranch_execz .LBB5_139
; %bb.134:
	s_wait_loadcnt 0x0
	v_mov_b32_e32 v0, 0
	s_mov_b32 s4, exec_lo
	global_load_b64 v[6:7], v0, s[34:35] offset:24 scope:SCOPE_SYS
	s_wait_loadcnt 0x0
	global_inv scope:SCOPE_SYS
	s_clause 0x1
	global_load_b64 v[2:3], v0, s[34:35] offset:40
	global_load_b64 v[4:5], v0, s[34:35]
	s_wait_loadcnt 0x1
	v_and_b32_e32 v2, v2, v6
	v_and_b32_e32 v3, v3, v7
	s_delay_alu instid0(VALU_DEP_1) | instskip(SKIP_1) | instid1(VALU_DEP_1)
	v_mul_u64_e32 v[2:3], 24, v[2:3]
	s_wait_loadcnt 0x0
	v_add_nc_u64_e32 v[2:3], v[4:5], v[2:3]
	global_load_b64 v[4:5], v[2:3], off scope:SCOPE_SYS
	s_wait_xcnt 0x0
	s_wait_loadcnt 0x0
	global_atomic_cmpswap_b64 v[4:5], v0, v[4:7], s[34:35] offset:24 th:TH_ATOMIC_RETURN scope:SCOPE_SYS
	s_wait_loadcnt 0x0
	global_inv scope:SCOPE_SYS
	s_wait_xcnt 0x0
	v_cmpx_ne_u64_e64 v[4:5], v[6:7]
	s_cbranch_execz .LBB5_138
; %bb.135:
	s_mov_b32 s5, 0
.LBB5_136:                              ; =>This Inner Loop Header: Depth=1
	s_sleep 1
	s_clause 0x1
	global_load_b64 v[2:3], v0, s[34:35] offset:40
	global_load_b64 v[8:9], v0, s[34:35]
	v_mov_b64_e32 v[6:7], v[4:5]
	s_wait_loadcnt 0x1
	s_delay_alu instid0(VALU_DEP_1) | instskip(SKIP_1) | instid1(VALU_DEP_1)
	v_and_b32_e32 v1, v2, v6
	s_wait_loadcnt 0x0
	v_mad_nc_u64_u32 v[4:5], v1, 24, v[8:9]
	s_delay_alu instid0(VALU_DEP_3) | instskip(NEXT) | instid1(VALU_DEP_1)
	v_and_b32_e32 v1, v3, v7
	v_mad_u32 v5, v1, 24, v5
	global_load_b64 v[4:5], v[4:5], off scope:SCOPE_SYS
	s_wait_xcnt 0x0
	s_wait_loadcnt 0x0
	global_atomic_cmpswap_b64 v[4:5], v0, v[4:7], s[34:35] offset:24 th:TH_ATOMIC_RETURN scope:SCOPE_SYS
	s_wait_loadcnt 0x0
	global_inv scope:SCOPE_SYS
	v_cmp_eq_u64_e32 vcc_lo, v[4:5], v[6:7]
	s_or_b32 s5, vcc_lo, s5
	s_wait_xcnt 0x0
	s_and_not1_b32 exec_lo, exec_lo, s5
	s_cbranch_execnz .LBB5_136
; %bb.137:
	s_or_b32 exec_lo, exec_lo, s5
.LBB5_138:
	s_delay_alu instid0(SALU_CYCLE_1)
	s_or_b32 exec_lo, exec_lo, s4
.LBB5_139:
	s_delay_alu instid0(SALU_CYCLE_1)
	s_or_b32 exec_lo, exec_lo, s3
	v_readfirstlane_b32 s4, v4
	v_mov_b32_e32 v43, 0
	v_readfirstlane_b32 s5, v5
	s_mov_b32 s3, exec_lo
	s_wait_loadcnt 0x0
	s_clause 0x1
	global_load_b64 v[6:7], v43, s[34:35] offset:40
	global_load_b128 v[0:3], v43, s[34:35]
	s_wait_loadcnt 0x1
	v_and_b32_e32 v6, s4, v6
	v_and_b32_e32 v7, s5, v7
	s_delay_alu instid0(VALU_DEP_1) | instskip(SKIP_1) | instid1(VALU_DEP_1)
	v_mul_u64_e32 v[4:5], 24, v[6:7]
	s_wait_loadcnt 0x0
	v_add_nc_u64_e32 v[4:5], v[0:1], v[4:5]
	s_wait_xcnt 0x0
	s_and_saveexec_b32 s6, s2
	s_cbranch_execz .LBB5_141
; %bb.140:
	v_mov_b64_e32 v[10:11], 0x100000002
	v_dual_mov_b32 v8, s3 :: v_dual_mov_b32 v9, v43
	global_store_b128 v[4:5], v[8:11], off offset:8
.LBB5_141:
	s_wait_xcnt 0x0
	s_or_b32 exec_lo, exec_lo, s6
	v_lshlrev_b64_e32 v[6:7], 12, v[6:7]
	s_mov_b32 s8, 0
	v_dual_mov_b32 v8, 33 :: v_dual_mov_b32 v9, v43
	s_mov_b32 s10, s8
	s_mov_b32 s11, s8
	;; [unrolled: 1-line block ×3, first 2 shown]
	s_delay_alu instid0(VALU_DEP_2) | instskip(SKIP_3) | instid1(VALU_DEP_4)
	v_add_nc_u64_e32 v[6:7], v[2:3], v[6:7]
	v_mov_b64_e32 v[14:15], s[10:11]
	v_mov_b64_e32 v[12:13], s[8:9]
	v_dual_mov_b32 v10, v43 :: v_dual_mov_b32 v11, v43
	v_readfirstlane_b32 s6, v6
	v_readfirstlane_b32 s7, v7
	s_clause 0x3
	global_store_b128 v42, v[8:11], s[6:7]
	global_store_b128 v42, v[12:15], s[6:7] offset:16
	global_store_b128 v42, v[12:15], s[6:7] offset:32
	;; [unrolled: 1-line block ×3, first 2 shown]
	s_wait_xcnt 0x0
	s_and_saveexec_b32 s3, s2
	s_cbranch_execz .LBB5_149
; %bb.142:
	v_dual_mov_b32 v10, 0 :: v_dual_mov_b32 v13, s5
	s_mov_b32 s6, exec_lo
	s_clause 0x1
	global_load_b64 v[14:15], v10, s[34:35] offset:32 scope:SCOPE_SYS
	global_load_b64 v[2:3], v10, s[34:35] offset:40
	s_wait_loadcnt 0x0
	v_dual_mov_b32 v12, s4 :: v_dual_bitop2_b32 v3, s5, v3 bitop3:0x40
	v_and_b32_e32 v2, s4, v2
	s_delay_alu instid0(VALU_DEP_1) | instskip(NEXT) | instid1(VALU_DEP_1)
	v_mul_u64_e32 v[2:3], 24, v[2:3]
	v_add_nc_u64_e32 v[8:9], v[0:1], v[2:3]
	global_store_b64 v[8:9], v[14:15], off
	global_wb scope:SCOPE_SYS
	s_wait_storecnt 0x0
	s_wait_xcnt 0x0
	global_atomic_cmpswap_b64 v[2:3], v10, v[12:15], s[34:35] offset:32 th:TH_ATOMIC_RETURN scope:SCOPE_SYS
	s_wait_loadcnt 0x0
	v_cmpx_ne_u64_e64 v[2:3], v[14:15]
	s_cbranch_execz .LBB5_145
; %bb.143:
	s_mov_b32 s7, 0
.LBB5_144:                              ; =>This Inner Loop Header: Depth=1
	v_dual_mov_b32 v0, s4 :: v_dual_mov_b32 v1, s5
	s_sleep 1
	global_store_b64 v[8:9], v[2:3], off
	global_wb scope:SCOPE_SYS
	s_wait_storecnt 0x0
	s_wait_xcnt 0x0
	global_atomic_cmpswap_b64 v[0:1], v10, v[0:3], s[34:35] offset:32 th:TH_ATOMIC_RETURN scope:SCOPE_SYS
	s_wait_loadcnt 0x0
	v_cmp_eq_u64_e32 vcc_lo, v[0:1], v[2:3]
	v_mov_b64_e32 v[2:3], v[0:1]
	s_or_b32 s7, vcc_lo, s7
	s_delay_alu instid0(SALU_CYCLE_1)
	s_and_not1_b32 exec_lo, exec_lo, s7
	s_cbranch_execnz .LBB5_144
.LBB5_145:
	s_or_b32 exec_lo, exec_lo, s6
	v_mov_b32_e32 v3, 0
	s_mov_b32 s7, exec_lo
	s_mov_b32 s6, exec_lo
	v_mbcnt_lo_u32_b32 v2, s7, 0
	global_load_b64 v[0:1], v3, s[34:35] offset:16
	s_wait_xcnt 0x0
	v_cmpx_eq_u32_e32 0, v2
	s_cbranch_execz .LBB5_147
; %bb.146:
	s_bcnt1_i32_b32 s7, s7
	s_delay_alu instid0(SALU_CYCLE_1)
	v_mov_b32_e32 v2, s7
	global_wb scope:SCOPE_SYS
	s_wait_loadcnt 0x0
	s_wait_storecnt 0x0
	global_atomic_add_u64 v[0:1], v[2:3], off offset:8 scope:SCOPE_SYS
.LBB5_147:
	s_wait_xcnt 0x0
	s_or_b32 exec_lo, exec_lo, s6
	s_wait_loadcnt 0x0
	global_load_b64 v[2:3], v[0:1], off offset:16
	s_wait_loadcnt 0x0
	v_cmp_eq_u64_e32 vcc_lo, 0, v[2:3]
	s_cbranch_vccnz .LBB5_149
; %bb.148:
	global_load_b32 v0, v[0:1], off offset:24
	s_wait_xcnt 0x0
	v_mov_b32_e32 v1, 0
	s_wait_loadcnt 0x0
	v_readfirstlane_b32 s6, v0
	global_wb scope:SCOPE_SYS
	s_wait_storecnt 0x0
	global_store_b64 v[2:3], v[0:1], off scope:SCOPE_SYS
	s_and_b32 m0, s6, 0xffffff
	s_sendmsg sendmsg(MSG_INTERRUPT)
.LBB5_149:
	s_wait_xcnt 0x0
	s_or_b32 exec_lo, exec_lo, s3
	v_add_nc_u64_e32 v[0:1], v[6:7], v[42:43]
	s_branch .LBB5_153
.LBB5_150:                              ;   in Loop: Header=BB5_153 Depth=1
	s_wait_xcnt 0x0
	s_or_b32 exec_lo, exec_lo, s3
	s_delay_alu instid0(VALU_DEP_1)
	v_readfirstlane_b32 s3, v2
	s_cmp_eq_u32 s3, 0
	s_cbranch_scc1 .LBB5_152
; %bb.151:                              ;   in Loop: Header=BB5_153 Depth=1
	s_sleep 1
	s_cbranch_execnz .LBB5_153
	s_branch .LBB5_155
.LBB5_152:
	s_branch .LBB5_155
.LBB5_153:                              ; =>This Inner Loop Header: Depth=1
	v_mov_b32_e32 v2, 1
	s_and_saveexec_b32 s3, s2
	s_cbranch_execz .LBB5_150
; %bb.154:                              ;   in Loop: Header=BB5_153 Depth=1
	global_load_b32 v2, v[4:5], off offset:20 scope:SCOPE_SYS
	s_wait_loadcnt 0x0
	global_inv scope:SCOPE_SYS
	v_and_b32_e32 v2, 1, v2
	s_branch .LBB5_150
.LBB5_155:
	global_load_b64 v[0:1], v[0:1], off
	s_wait_xcnt 0x0
	s_and_saveexec_b32 s6, s2
	s_cbranch_execz .LBB5_159
; %bb.156:
	v_mov_b32_e32 v8, 0
	s_clause 0x2
	global_load_b64 v[2:3], v8, s[34:35] offset:40
	global_load_b64 v[12:13], v8, s[34:35] offset:24 scope:SCOPE_SYS
	global_load_b64 v[4:5], v8, s[34:35]
	s_wait_loadcnt 0x2
	v_readfirstlane_b32 s8, v2
	v_readfirstlane_b32 s9, v3
	s_add_nc_u64 s[2:3], s[8:9], 1
	s_delay_alu instid0(SALU_CYCLE_1) | instskip(NEXT) | instid1(SALU_CYCLE_1)
	s_add_nc_u64 s[4:5], s[2:3], s[4:5]
	s_cmp_eq_u64 s[4:5], 0
	s_cselect_b32 s3, s3, s5
	s_cselect_b32 s2, s2, s4
	v_mov_b32_e32 v11, s3
	s_and_b64 s[4:5], s[2:3], s[8:9]
	v_mov_b32_e32 v10, s2
	s_mul_u64 s[4:5], s[4:5], 24
	s_wait_loadcnt 0x0
	v_add_nc_u64_e32 v[6:7], s[4:5], v[4:5]
	global_store_b64 v[6:7], v[12:13], off
	global_wb scope:SCOPE_SYS
	s_wait_storecnt 0x0
	s_wait_xcnt 0x0
	global_atomic_cmpswap_b64 v[4:5], v8, v[10:13], s[34:35] offset:24 th:TH_ATOMIC_RETURN scope:SCOPE_SYS
	s_wait_loadcnt 0x0
	v_cmp_ne_u64_e32 vcc_lo, v[4:5], v[12:13]
	s_and_b32 exec_lo, exec_lo, vcc_lo
	s_cbranch_execz .LBB5_159
; %bb.157:
	s_mov_b32 s4, 0
.LBB5_158:                              ; =>This Inner Loop Header: Depth=1
	v_dual_mov_b32 v2, s2 :: v_dual_mov_b32 v3, s3
	s_sleep 1
	global_store_b64 v[6:7], v[4:5], off
	global_wb scope:SCOPE_SYS
	s_wait_storecnt 0x0
	s_wait_xcnt 0x0
	global_atomic_cmpswap_b64 v[2:3], v8, v[2:5], s[34:35] offset:24 th:TH_ATOMIC_RETURN scope:SCOPE_SYS
	s_wait_loadcnt 0x0
	v_cmp_eq_u64_e32 vcc_lo, v[2:3], v[4:5]
	v_mov_b64_e32 v[4:5], v[2:3]
	s_or_b32 s4, vcc_lo, s4
	s_delay_alu instid0(SALU_CYCLE_1)
	s_and_not1_b32 exec_lo, exec_lo, s4
	s_cbranch_execnz .LBB5_158
.LBB5_159:
	s_or_b32 exec_lo, exec_lo, s6
	s_get_pc_i64 s[4:5]
	s_add_nc_u64 s[4:5], s[4:5], .str.1@rel64+4
	s_delay_alu instid0(SALU_CYCLE_1)
	s_cmp_lg_u64 s[4:5], 0
	s_cbranch_scc0 .LBB5_238
; %bb.160:
	v_mov_b64_e32 v[4:5], 0x100000002
	s_wait_loadcnt 0x0
	v_dual_mov_b32 v7, v1 :: v_dual_bitop2_b32 v6, -3, v0 bitop3:0x40
	v_mov_b32_e32 v3, 0
	s_mov_b64 s[6:7], 29
	s_branch .LBB5_162
.LBB5_161:                              ;   in Loop: Header=BB5_162 Depth=1
	s_or_b32 exec_lo, exec_lo, s12
	s_sub_nc_u64 s[6:7], s[6:7], s[8:9]
	s_add_nc_u64 s[4:5], s[4:5], s[8:9]
	s_cmp_lg_u64 s[6:7], 0
	s_cbranch_scc0 .LBB5_237
.LBB5_162:                              ; =>This Loop Header: Depth=1
                                        ;     Child Loop BB5_165 Depth 2
                                        ;     Child Loop BB5_172 Depth 2
	;; [unrolled: 1-line block ×11, first 2 shown]
	s_wait_loadcnt 0x0
	v_min_u64 v[8:9], s[6:7], 56
	v_cmp_gt_u64_e64 s2, s[6:7], 7
	s_and_b32 vcc_lo, exec_lo, s2
	v_readfirstlane_b32 s8, v8
	v_readfirstlane_b32 s9, v9
	s_cbranch_vccnz .LBB5_167
; %bb.163:                              ;   in Loop: Header=BB5_162 Depth=1
	v_mov_b64_e32 v[8:9], 0
	s_cmp_eq_u64 s[6:7], 0
	s_cbranch_scc1 .LBB5_166
; %bb.164:                              ;   in Loop: Header=BB5_162 Depth=1
	s_mov_b64 s[2:3], 0
	s_mov_b64 s[10:11], 0
.LBB5_165:                              ;   Parent Loop BB5_162 Depth=1
                                        ; =>  This Inner Loop Header: Depth=2
	s_wait_xcnt 0x0
	s_add_nc_u64 s[12:13], s[4:5], s[10:11]
	s_add_nc_u64 s[10:11], s[10:11], 1
	global_load_u8 v2, v3, s[12:13]
	s_cmp_lg_u32 s8, s10
	s_wait_loadcnt 0x0
	v_and_b32_e32 v2, 0xffff, v2
	s_delay_alu instid0(VALU_DEP_1) | instskip(SKIP_1) | instid1(VALU_DEP_1)
	v_lshlrev_b64_e32 v[10:11], s2, v[2:3]
	s_add_nc_u64 s[2:3], s[2:3], 8
	v_or_b32_e32 v8, v10, v8
	s_delay_alu instid0(VALU_DEP_2)
	v_or_b32_e32 v9, v11, v9
	s_cbranch_scc1 .LBB5_165
.LBB5_166:                              ;   in Loop: Header=BB5_162 Depth=1
	s_mov_b64 s[10:11], s[4:5]
	s_mov_b32 s14, 0
	s_cbranch_execz .LBB5_168
	s_branch .LBB5_169
.LBB5_167:                              ;   in Loop: Header=BB5_162 Depth=1
	s_add_nc_u64 s[10:11], s[4:5], 8
	s_mov_b32 s14, 0
.LBB5_168:                              ;   in Loop: Header=BB5_162 Depth=1
	global_load_b64 v[8:9], v3, s[4:5]
	s_add_co_i32 s14, s8, -8
.LBB5_169:                              ;   in Loop: Header=BB5_162 Depth=1
	s_delay_alu instid0(SALU_CYCLE_1)
	s_cmp_gt_u32 s14, 7
	s_cbranch_scc1 .LBB5_174
; %bb.170:                              ;   in Loop: Header=BB5_162 Depth=1
	v_mov_b64_e32 v[10:11], 0
	s_cmp_eq_u32 s14, 0
	s_cbranch_scc1 .LBB5_173
; %bb.171:                              ;   in Loop: Header=BB5_162 Depth=1
	s_mov_b64 s[2:3], 0
	s_wait_xcnt 0x0
	s_mov_b64 s[12:13], 0
.LBB5_172:                              ;   Parent Loop BB5_162 Depth=1
                                        ; =>  This Inner Loop Header: Depth=2
	s_wait_xcnt 0x0
	s_add_nc_u64 s[16:17], s[10:11], s[12:13]
	s_add_nc_u64 s[12:13], s[12:13], 1
	global_load_u8 v2, v3, s[16:17]
	s_cmp_lg_u32 s14, s12
	s_wait_loadcnt 0x0
	v_and_b32_e32 v2, 0xffff, v2
	s_delay_alu instid0(VALU_DEP_1) | instskip(SKIP_1) | instid1(VALU_DEP_1)
	v_lshlrev_b64_e32 v[12:13], s2, v[2:3]
	s_add_nc_u64 s[2:3], s[2:3], 8
	v_or_b32_e32 v10, v12, v10
	s_delay_alu instid0(VALU_DEP_2)
	v_or_b32_e32 v11, v13, v11
	s_cbranch_scc1 .LBB5_172
.LBB5_173:                              ;   in Loop: Header=BB5_162 Depth=1
	s_wait_xcnt 0x0
	s_mov_b64 s[2:3], s[10:11]
	s_mov_b32 s15, 0
	s_cbranch_execz .LBB5_175
	s_branch .LBB5_176
.LBB5_174:                              ;   in Loop: Header=BB5_162 Depth=1
	s_add_nc_u64 s[2:3], s[10:11], 8
	s_wait_xcnt 0x0
                                        ; implicit-def: $vgpr10_vgpr11
	s_mov_b32 s15, 0
.LBB5_175:                              ;   in Loop: Header=BB5_162 Depth=1
	global_load_b64 v[10:11], v3, s[10:11]
	s_add_co_i32 s15, s14, -8
.LBB5_176:                              ;   in Loop: Header=BB5_162 Depth=1
	s_delay_alu instid0(SALU_CYCLE_1)
	s_cmp_gt_u32 s15, 7
	s_cbranch_scc1 .LBB5_181
; %bb.177:                              ;   in Loop: Header=BB5_162 Depth=1
	v_mov_b64_e32 v[12:13], 0
	s_cmp_eq_u32 s15, 0
	s_cbranch_scc1 .LBB5_180
; %bb.178:                              ;   in Loop: Header=BB5_162 Depth=1
	s_wait_xcnt 0x0
	s_mov_b64 s[10:11], 0
	s_mov_b64 s[12:13], 0
.LBB5_179:                              ;   Parent Loop BB5_162 Depth=1
                                        ; =>  This Inner Loop Header: Depth=2
	s_wait_xcnt 0x0
	s_add_nc_u64 s[16:17], s[2:3], s[12:13]
	s_add_nc_u64 s[12:13], s[12:13], 1
	global_load_u8 v2, v3, s[16:17]
	s_cmp_lg_u32 s15, s12
	s_wait_loadcnt 0x0
	v_and_b32_e32 v2, 0xffff, v2
	s_delay_alu instid0(VALU_DEP_1) | instskip(SKIP_1) | instid1(VALU_DEP_1)
	v_lshlrev_b64_e32 v[14:15], s10, v[2:3]
	s_add_nc_u64 s[10:11], s[10:11], 8
	v_or_b32_e32 v12, v14, v12
	s_delay_alu instid0(VALU_DEP_2)
	v_or_b32_e32 v13, v15, v13
	s_cbranch_scc1 .LBB5_179
.LBB5_180:                              ;   in Loop: Header=BB5_162 Depth=1
	s_wait_xcnt 0x0
	s_mov_b64 s[10:11], s[2:3]
	s_mov_b32 s14, 0
	s_cbranch_execz .LBB5_182
	s_branch .LBB5_183
.LBB5_181:                              ;   in Loop: Header=BB5_162 Depth=1
	s_wait_xcnt 0x0
	s_add_nc_u64 s[10:11], s[2:3], 8
	s_mov_b32 s14, 0
.LBB5_182:                              ;   in Loop: Header=BB5_162 Depth=1
	global_load_b64 v[12:13], v3, s[2:3]
	s_add_co_i32 s14, s15, -8
.LBB5_183:                              ;   in Loop: Header=BB5_162 Depth=1
	s_delay_alu instid0(SALU_CYCLE_1)
	s_cmp_gt_u32 s14, 7
	s_cbranch_scc1 .LBB5_188
; %bb.184:                              ;   in Loop: Header=BB5_162 Depth=1
	v_mov_b64_e32 v[14:15], 0
	s_cmp_eq_u32 s14, 0
	s_cbranch_scc1 .LBB5_187
; %bb.185:                              ;   in Loop: Header=BB5_162 Depth=1
	s_wait_xcnt 0x0
	s_mov_b64 s[2:3], 0
	s_mov_b64 s[12:13], 0
.LBB5_186:                              ;   Parent Loop BB5_162 Depth=1
                                        ; =>  This Inner Loop Header: Depth=2
	s_wait_xcnt 0x0
	s_add_nc_u64 s[16:17], s[10:11], s[12:13]
	s_add_nc_u64 s[12:13], s[12:13], 1
	global_load_u8 v2, v3, s[16:17]
	s_cmp_lg_u32 s14, s12
	s_wait_loadcnt 0x0
	v_and_b32_e32 v2, 0xffff, v2
	s_delay_alu instid0(VALU_DEP_1) | instskip(SKIP_1) | instid1(VALU_DEP_1)
	v_lshlrev_b64_e32 v[16:17], s2, v[2:3]
	s_add_nc_u64 s[2:3], s[2:3], 8
	v_or_b32_e32 v14, v16, v14
	s_delay_alu instid0(VALU_DEP_2)
	v_or_b32_e32 v15, v17, v15
	s_cbranch_scc1 .LBB5_186
.LBB5_187:                              ;   in Loop: Header=BB5_162 Depth=1
	s_wait_xcnt 0x0
	s_mov_b64 s[2:3], s[10:11]
	s_mov_b32 s15, 0
	s_cbranch_execz .LBB5_189
	s_branch .LBB5_190
.LBB5_188:                              ;   in Loop: Header=BB5_162 Depth=1
	s_wait_xcnt 0x0
	s_add_nc_u64 s[2:3], s[10:11], 8
                                        ; implicit-def: $vgpr14_vgpr15
	s_mov_b32 s15, 0
.LBB5_189:                              ;   in Loop: Header=BB5_162 Depth=1
	global_load_b64 v[14:15], v3, s[10:11]
	s_add_co_i32 s15, s14, -8
.LBB5_190:                              ;   in Loop: Header=BB5_162 Depth=1
	s_delay_alu instid0(SALU_CYCLE_1)
	s_cmp_gt_u32 s15, 7
	s_cbranch_scc1 .LBB5_195
; %bb.191:                              ;   in Loop: Header=BB5_162 Depth=1
	v_mov_b64_e32 v[16:17], 0
	s_cmp_eq_u32 s15, 0
	s_cbranch_scc1 .LBB5_194
; %bb.192:                              ;   in Loop: Header=BB5_162 Depth=1
	s_wait_xcnt 0x0
	s_mov_b64 s[10:11], 0
	s_mov_b64 s[12:13], 0
.LBB5_193:                              ;   Parent Loop BB5_162 Depth=1
                                        ; =>  This Inner Loop Header: Depth=2
	s_wait_xcnt 0x0
	s_add_nc_u64 s[16:17], s[2:3], s[12:13]
	s_add_nc_u64 s[12:13], s[12:13], 1
	global_load_u8 v2, v3, s[16:17]
	s_cmp_lg_u32 s15, s12
	s_wait_loadcnt 0x0
	v_and_b32_e32 v2, 0xffff, v2
	s_delay_alu instid0(VALU_DEP_1) | instskip(SKIP_1) | instid1(VALU_DEP_1)
	v_lshlrev_b64_e32 v[18:19], s10, v[2:3]
	s_add_nc_u64 s[10:11], s[10:11], 8
	v_or_b32_e32 v16, v18, v16
	s_delay_alu instid0(VALU_DEP_2)
	v_or_b32_e32 v17, v19, v17
	s_cbranch_scc1 .LBB5_193
.LBB5_194:                              ;   in Loop: Header=BB5_162 Depth=1
	s_wait_xcnt 0x0
	s_mov_b64 s[10:11], s[2:3]
	s_mov_b32 s14, 0
	s_cbranch_execz .LBB5_196
	s_branch .LBB5_197
.LBB5_195:                              ;   in Loop: Header=BB5_162 Depth=1
	s_wait_xcnt 0x0
	s_add_nc_u64 s[10:11], s[2:3], 8
	s_mov_b32 s14, 0
.LBB5_196:                              ;   in Loop: Header=BB5_162 Depth=1
	global_load_b64 v[16:17], v3, s[2:3]
	s_add_co_i32 s14, s15, -8
.LBB5_197:                              ;   in Loop: Header=BB5_162 Depth=1
	s_delay_alu instid0(SALU_CYCLE_1)
	s_cmp_gt_u32 s14, 7
	s_cbranch_scc1 .LBB5_202
; %bb.198:                              ;   in Loop: Header=BB5_162 Depth=1
	v_mov_b64_e32 v[18:19], 0
	s_cmp_eq_u32 s14, 0
	s_cbranch_scc1 .LBB5_201
; %bb.199:                              ;   in Loop: Header=BB5_162 Depth=1
	s_wait_xcnt 0x0
	s_mov_b64 s[2:3], 0
	s_mov_b64 s[12:13], 0
.LBB5_200:                              ;   Parent Loop BB5_162 Depth=1
                                        ; =>  This Inner Loop Header: Depth=2
	s_wait_xcnt 0x0
	s_add_nc_u64 s[16:17], s[10:11], s[12:13]
	s_add_nc_u64 s[12:13], s[12:13], 1
	global_load_u8 v2, v3, s[16:17]
	s_cmp_lg_u32 s14, s12
	s_wait_loadcnt 0x0
	v_and_b32_e32 v2, 0xffff, v2
	s_delay_alu instid0(VALU_DEP_1) | instskip(SKIP_1) | instid1(VALU_DEP_1)
	v_lshlrev_b64_e32 v[20:21], s2, v[2:3]
	s_add_nc_u64 s[2:3], s[2:3], 8
	v_or_b32_e32 v18, v20, v18
	s_delay_alu instid0(VALU_DEP_2)
	v_or_b32_e32 v19, v21, v19
	s_cbranch_scc1 .LBB5_200
.LBB5_201:                              ;   in Loop: Header=BB5_162 Depth=1
	s_wait_xcnt 0x0
	s_mov_b64 s[2:3], s[10:11]
	s_mov_b32 s15, 0
	s_cbranch_execz .LBB5_203
	s_branch .LBB5_204
.LBB5_202:                              ;   in Loop: Header=BB5_162 Depth=1
	s_wait_xcnt 0x0
	s_add_nc_u64 s[2:3], s[10:11], 8
                                        ; implicit-def: $vgpr18_vgpr19
	s_mov_b32 s15, 0
.LBB5_203:                              ;   in Loop: Header=BB5_162 Depth=1
	global_load_b64 v[18:19], v3, s[10:11]
	s_add_co_i32 s15, s14, -8
.LBB5_204:                              ;   in Loop: Header=BB5_162 Depth=1
	s_delay_alu instid0(SALU_CYCLE_1)
	s_cmp_gt_u32 s15, 7
	s_cbranch_scc1 .LBB5_209
; %bb.205:                              ;   in Loop: Header=BB5_162 Depth=1
	v_mov_b64_e32 v[20:21], 0
	s_cmp_eq_u32 s15, 0
	s_cbranch_scc1 .LBB5_208
; %bb.206:                              ;   in Loop: Header=BB5_162 Depth=1
	s_wait_xcnt 0x0
	s_mov_b64 s[10:11], 0
	s_mov_b64 s[12:13], s[2:3]
.LBB5_207:                              ;   Parent Loop BB5_162 Depth=1
                                        ; =>  This Inner Loop Header: Depth=2
	global_load_u8 v2, v3, s[12:13]
	s_add_co_i32 s15, s15, -1
	s_wait_xcnt 0x0
	s_add_nc_u64 s[12:13], s[12:13], 1
	s_cmp_lg_u32 s15, 0
	s_wait_loadcnt 0x0
	v_and_b32_e32 v2, 0xffff, v2
	s_delay_alu instid0(VALU_DEP_1) | instskip(SKIP_1) | instid1(VALU_DEP_1)
	v_lshlrev_b64_e32 v[22:23], s10, v[2:3]
	s_add_nc_u64 s[10:11], s[10:11], 8
	v_or_b32_e32 v20, v22, v20
	s_delay_alu instid0(VALU_DEP_2)
	v_or_b32_e32 v21, v23, v21
	s_cbranch_scc1 .LBB5_207
.LBB5_208:                              ;   in Loop: Header=BB5_162 Depth=1
	s_wait_xcnt 0x0
	s_cbranch_execz .LBB5_210
	s_branch .LBB5_211
.LBB5_209:                              ;   in Loop: Header=BB5_162 Depth=1
	s_wait_xcnt 0x0
.LBB5_210:                              ;   in Loop: Header=BB5_162 Depth=1
	global_load_b64 v[20:21], v3, s[2:3]
.LBB5_211:                              ;   in Loop: Header=BB5_162 Depth=1
	s_wait_xcnt 0x0
	v_readfirstlane_b32 s2, v56
	v_mov_b64_e32 v[26:27], 0
	s_delay_alu instid0(VALU_DEP_2)
	v_cmp_eq_u32_e64 s2, s2, v56
	s_and_saveexec_b32 s3, s2
	s_cbranch_execz .LBB5_217
; %bb.212:                              ;   in Loop: Header=BB5_162 Depth=1
	global_load_b64 v[24:25], v3, s[34:35] offset:24 scope:SCOPE_SYS
	s_wait_loadcnt 0x0
	global_inv scope:SCOPE_SYS
	s_clause 0x1
	global_load_b64 v[22:23], v3, s[34:35] offset:40
	global_load_b64 v[26:27], v3, s[34:35]
	s_mov_b32 s10, exec_lo
	s_wait_loadcnt 0x1
	v_and_b32_e32 v22, v22, v24
	v_and_b32_e32 v23, v23, v25
	s_delay_alu instid0(VALU_DEP_1) | instskip(SKIP_1) | instid1(VALU_DEP_1)
	v_mul_u64_e32 v[22:23], 24, v[22:23]
	s_wait_loadcnt 0x0
	v_add_nc_u64_e32 v[22:23], v[26:27], v[22:23]
	global_load_b64 v[22:23], v[22:23], off scope:SCOPE_SYS
	s_wait_xcnt 0x0
	s_wait_loadcnt 0x0
	global_atomic_cmpswap_b64 v[26:27], v3, v[22:25], s[34:35] offset:24 th:TH_ATOMIC_RETURN scope:SCOPE_SYS
	s_wait_loadcnt 0x0
	global_inv scope:SCOPE_SYS
	s_wait_xcnt 0x0
	v_cmpx_ne_u64_e64 v[26:27], v[24:25]
	s_cbranch_execz .LBB5_216
; %bb.213:                              ;   in Loop: Header=BB5_162 Depth=1
	s_mov_b32 s11, 0
.LBB5_214:                              ;   Parent Loop BB5_162 Depth=1
                                        ; =>  This Inner Loop Header: Depth=2
	s_sleep 1
	s_clause 0x1
	global_load_b64 v[22:23], v3, s[34:35] offset:40
	global_load_b64 v[28:29], v3, s[34:35]
	v_mov_b64_e32 v[24:25], v[26:27]
	s_wait_loadcnt 0x1
	s_delay_alu instid0(VALU_DEP_1) | instskip(SKIP_1) | instid1(VALU_DEP_1)
	v_and_b32_e32 v2, v22, v24
	s_wait_loadcnt 0x0
	v_mad_nc_u64_u32 v[26:27], v2, 24, v[28:29]
	s_delay_alu instid0(VALU_DEP_3) | instskip(NEXT) | instid1(VALU_DEP_1)
	v_and_b32_e32 v2, v23, v25
	v_mad_u32 v27, v2, 24, v27
	global_load_b64 v[22:23], v[26:27], off scope:SCOPE_SYS
	s_wait_xcnt 0x0
	s_wait_loadcnt 0x0
	global_atomic_cmpswap_b64 v[26:27], v3, v[22:25], s[34:35] offset:24 th:TH_ATOMIC_RETURN scope:SCOPE_SYS
	s_wait_loadcnt 0x0
	global_inv scope:SCOPE_SYS
	v_cmp_eq_u64_e32 vcc_lo, v[26:27], v[24:25]
	s_or_b32 s11, vcc_lo, s11
	s_wait_xcnt 0x0
	s_and_not1_b32 exec_lo, exec_lo, s11
	s_cbranch_execnz .LBB5_214
; %bb.215:                              ;   in Loop: Header=BB5_162 Depth=1
	s_or_b32 exec_lo, exec_lo, s11
.LBB5_216:                              ;   in Loop: Header=BB5_162 Depth=1
	s_delay_alu instid0(SALU_CYCLE_1)
	s_or_b32 exec_lo, exec_lo, s10
.LBB5_217:                              ;   in Loop: Header=BB5_162 Depth=1
	s_delay_alu instid0(SALU_CYCLE_1)
	s_or_b32 exec_lo, exec_lo, s3
	s_clause 0x1
	global_load_b64 v[28:29], v3, s[34:35] offset:40
	global_load_b128 v[22:25], v3, s[34:35]
	v_readfirstlane_b32 s10, v26
	v_readfirstlane_b32 s11, v27
	s_mov_b32 s3, exec_lo
	s_wait_loadcnt 0x1
	v_and_b32_e32 v28, s10, v28
	v_and_b32_e32 v29, s11, v29
	s_delay_alu instid0(VALU_DEP_1) | instskip(SKIP_1) | instid1(VALU_DEP_1)
	v_mul_u64_e32 v[26:27], 24, v[28:29]
	s_wait_loadcnt 0x0
	v_add_nc_u64_e32 v[26:27], v[22:23], v[26:27]
	s_wait_xcnt 0x0
	s_and_saveexec_b32 s12, s2
	s_cbranch_execz .LBB5_219
; %bb.218:                              ;   in Loop: Header=BB5_162 Depth=1
	v_mov_b32_e32 v2, s3
	global_store_b128 v[26:27], v[2:5], off offset:8
.LBB5_219:                              ;   in Loop: Header=BB5_162 Depth=1
	s_wait_xcnt 0x0
	s_or_b32 exec_lo, exec_lo, s12
	v_cmp_gt_u64_e64 s3, s[6:7], 56
	v_lshlrev_b64_e32 v[28:29], 12, v[28:29]
	v_and_b32_e32 v2, 0xffffff1f, v6
	s_and_b32 s3, s3, exec_lo
	s_delay_alu instid0(VALU_DEP_2) | instskip(SKIP_4) | instid1(VALU_DEP_2)
	v_add_nc_u64_e32 v[24:25], v[24:25], v[28:29]
	s_cselect_b32 s3, 0, 2
	s_lshl_b32 s12, s8, 2
	v_or_b32_e32 v2, s3, v2
	s_add_co_i32 s3, s12, 28
	v_readfirstlane_b32 s12, v24
	s_delay_alu instid0(VALU_DEP_3) | instskip(NEXT) | instid1(VALU_DEP_3)
	v_readfirstlane_b32 s13, v25
	v_and_or_b32 v6, 0x1e0, s3, v2
	s_clause 0x3
	global_store_b128 v42, v[6:9], s[12:13]
	global_store_b128 v42, v[10:13], s[12:13] offset:16
	global_store_b128 v42, v[14:17], s[12:13] offset:32
	;; [unrolled: 1-line block ×3, first 2 shown]
	s_wait_xcnt 0x0
	s_and_saveexec_b32 s3, s2
	s_cbranch_execz .LBB5_227
; %bb.220:                              ;   in Loop: Header=BB5_162 Depth=1
	s_clause 0x1
	global_load_b64 v[14:15], v3, s[34:35] offset:32 scope:SCOPE_SYS
	global_load_b64 v[6:7], v3, s[34:35] offset:40
	s_mov_b32 s12, exec_lo
	v_dual_mov_b32 v12, s10 :: v_dual_mov_b32 v13, s11
	s_wait_loadcnt 0x0
	v_and_b32_e32 v7, s11, v7
	v_and_b32_e32 v6, s10, v6
	s_delay_alu instid0(VALU_DEP_1) | instskip(NEXT) | instid1(VALU_DEP_1)
	v_mul_u64_e32 v[6:7], 24, v[6:7]
	v_add_nc_u64_e32 v[10:11], v[22:23], v[6:7]
	global_store_b64 v[10:11], v[14:15], off
	global_wb scope:SCOPE_SYS
	s_wait_storecnt 0x0
	s_wait_xcnt 0x0
	global_atomic_cmpswap_b64 v[8:9], v3, v[12:15], s[34:35] offset:32 th:TH_ATOMIC_RETURN scope:SCOPE_SYS
	s_wait_loadcnt 0x0
	v_cmpx_ne_u64_e64 v[8:9], v[14:15]
	s_cbranch_execz .LBB5_223
; %bb.221:                              ;   in Loop: Header=BB5_162 Depth=1
	s_mov_b32 s13, 0
.LBB5_222:                              ;   Parent Loop BB5_162 Depth=1
                                        ; =>  This Inner Loop Header: Depth=2
	v_dual_mov_b32 v6, s10 :: v_dual_mov_b32 v7, s11
	s_sleep 1
	global_store_b64 v[10:11], v[8:9], off
	global_wb scope:SCOPE_SYS
	s_wait_storecnt 0x0
	s_wait_xcnt 0x0
	global_atomic_cmpswap_b64 v[6:7], v3, v[6:9], s[34:35] offset:32 th:TH_ATOMIC_RETURN scope:SCOPE_SYS
	s_wait_loadcnt 0x0
	v_cmp_eq_u64_e32 vcc_lo, v[6:7], v[8:9]
	v_mov_b64_e32 v[8:9], v[6:7]
	s_or_b32 s13, vcc_lo, s13
	s_delay_alu instid0(SALU_CYCLE_1)
	s_and_not1_b32 exec_lo, exec_lo, s13
	s_cbranch_execnz .LBB5_222
.LBB5_223:                              ;   in Loop: Header=BB5_162 Depth=1
	s_or_b32 exec_lo, exec_lo, s12
	global_load_b64 v[6:7], v3, s[34:35] offset:16
	s_mov_b32 s13, exec_lo
	s_mov_b32 s12, exec_lo
	v_mbcnt_lo_u32_b32 v2, s13, 0
	s_wait_xcnt 0x0
	s_delay_alu instid0(VALU_DEP_1)
	v_cmpx_eq_u32_e32 0, v2
	s_cbranch_execz .LBB5_225
; %bb.224:                              ;   in Loop: Header=BB5_162 Depth=1
	s_bcnt1_i32_b32 s13, s13
	s_delay_alu instid0(SALU_CYCLE_1)
	v_mov_b32_e32 v2, s13
	global_wb scope:SCOPE_SYS
	s_wait_loadcnt 0x0
	s_wait_storecnt 0x0
	global_atomic_add_u64 v[6:7], v[2:3], off offset:8 scope:SCOPE_SYS
.LBB5_225:                              ;   in Loop: Header=BB5_162 Depth=1
	s_wait_xcnt 0x0
	s_or_b32 exec_lo, exec_lo, s12
	s_wait_loadcnt 0x0
	global_load_b64 v[8:9], v[6:7], off offset:16
	s_wait_loadcnt 0x0
	v_cmp_eq_u64_e32 vcc_lo, 0, v[8:9]
	s_cbranch_vccnz .LBB5_227
; %bb.226:                              ;   in Loop: Header=BB5_162 Depth=1
	global_load_b32 v2, v[6:7], off offset:24
	s_wait_loadcnt 0x0
	v_readfirstlane_b32 s12, v2
	global_wb scope:SCOPE_SYS
	s_wait_storecnt 0x0
	s_wait_xcnt 0x0
	global_store_b64 v[8:9], v[2:3], off scope:SCOPE_SYS
	s_and_b32 m0, s12, 0xffffff
	s_sendmsg sendmsg(MSG_INTERRUPT)
.LBB5_227:                              ;   in Loop: Header=BB5_162 Depth=1
	s_wait_xcnt 0x0
	s_or_b32 exec_lo, exec_lo, s3
	v_mov_b32_e32 v43, v3
	s_delay_alu instid0(VALU_DEP_1)
	v_add_nc_u64_e32 v[6:7], v[24:25], v[42:43]
	s_branch .LBB5_231
.LBB5_228:                              ;   in Loop: Header=BB5_231 Depth=2
	s_wait_xcnt 0x0
	s_or_b32 exec_lo, exec_lo, s3
	s_delay_alu instid0(VALU_DEP_1)
	v_readfirstlane_b32 s3, v2
	s_cmp_eq_u32 s3, 0
	s_cbranch_scc1 .LBB5_230
; %bb.229:                              ;   in Loop: Header=BB5_231 Depth=2
	s_sleep 1
	s_cbranch_execnz .LBB5_231
	s_branch .LBB5_233
.LBB5_230:                              ;   in Loop: Header=BB5_162 Depth=1
	s_branch .LBB5_233
.LBB5_231:                              ;   Parent Loop BB5_162 Depth=1
                                        ; =>  This Inner Loop Header: Depth=2
	v_mov_b32_e32 v2, 1
	s_and_saveexec_b32 s3, s2
	s_cbranch_execz .LBB5_228
; %bb.232:                              ;   in Loop: Header=BB5_231 Depth=2
	global_load_b32 v2, v[26:27], off offset:20 scope:SCOPE_SYS
	s_wait_loadcnt 0x0
	global_inv scope:SCOPE_SYS
	v_and_b32_e32 v2, 1, v2
	s_branch .LBB5_228
.LBB5_233:                              ;   in Loop: Header=BB5_162 Depth=1
	global_load_b128 v[6:9], v[6:7], off
	s_wait_xcnt 0x0
	s_and_saveexec_b32 s12, s2
	s_cbranch_execz .LBB5_161
; %bb.234:                              ;   in Loop: Header=BB5_162 Depth=1
	s_wait_loadcnt 0x0
	s_clause 0x2
	global_load_b64 v[8:9], v3, s[34:35] offset:40
	global_load_b64 v[16:17], v3, s[34:35] offset:24 scope:SCOPE_SYS
	global_load_b64 v[10:11], v3, s[34:35]
	s_wait_loadcnt 0x2
	v_readfirstlane_b32 s14, v8
	v_readfirstlane_b32 s15, v9
	s_add_nc_u64 s[2:3], s[14:15], 1
	s_delay_alu instid0(SALU_CYCLE_1) | instskip(NEXT) | instid1(SALU_CYCLE_1)
	s_add_nc_u64 s[10:11], s[2:3], s[10:11]
	s_cmp_eq_u64 s[10:11], 0
	s_cselect_b32 s3, s3, s11
	s_cselect_b32 s2, s2, s10
	s_delay_alu instid0(SALU_CYCLE_1) | instskip(SKIP_1) | instid1(SALU_CYCLE_1)
	v_dual_mov_b32 v15, s3 :: v_dual_mov_b32 v14, s2
	s_and_b64 s[10:11], s[2:3], s[14:15]
	s_mul_u64 s[10:11], s[10:11], 24
	s_wait_loadcnt 0x0
	v_add_nc_u64_e32 v[12:13], s[10:11], v[10:11]
	global_store_b64 v[12:13], v[16:17], off
	global_wb scope:SCOPE_SYS
	s_wait_storecnt 0x0
	s_wait_xcnt 0x0
	global_atomic_cmpswap_b64 v[10:11], v3, v[14:17], s[34:35] offset:24 th:TH_ATOMIC_RETURN scope:SCOPE_SYS
	s_wait_loadcnt 0x0
	v_cmp_ne_u64_e32 vcc_lo, v[10:11], v[16:17]
	s_and_b32 exec_lo, exec_lo, vcc_lo
	s_cbranch_execz .LBB5_161
; %bb.235:                              ;   in Loop: Header=BB5_162 Depth=1
	s_mov_b32 s10, 0
.LBB5_236:                              ;   Parent Loop BB5_162 Depth=1
                                        ; =>  This Inner Loop Header: Depth=2
	v_dual_mov_b32 v8, s2 :: v_dual_mov_b32 v9, s3
	s_sleep 1
	global_store_b64 v[12:13], v[10:11], off
	global_wb scope:SCOPE_SYS
	s_wait_storecnt 0x0
	s_wait_xcnt 0x0
	global_atomic_cmpswap_b64 v[8:9], v3, v[8:11], s[34:35] offset:24 th:TH_ATOMIC_RETURN scope:SCOPE_SYS
	s_wait_loadcnt 0x0
	v_cmp_eq_u64_e32 vcc_lo, v[8:9], v[10:11]
	v_mov_b64_e32 v[10:11], v[8:9]
	s_or_b32 s10, vcc_lo, s10
	s_delay_alu instid0(SALU_CYCLE_1)
	s_and_not1_b32 exec_lo, exec_lo, s10
	s_cbranch_execnz .LBB5_236
	s_branch .LBB5_161
.LBB5_237:
	s_branch .LBB5_266
.LBB5_238:
	s_cbranch_execz .LBB5_266
; %bb.239:
	v_readfirstlane_b32 s2, v56
	s_wait_loadcnt 0x0
	v_mov_b64_e32 v[8:9], 0
	s_delay_alu instid0(VALU_DEP_2)
	v_cmp_eq_u32_e64 s2, s2, v56
	s_and_saveexec_b32 s3, s2
	s_cbranch_execz .LBB5_245
; %bb.240:
	v_mov_b32_e32 v2, 0
	s_mov_b32 s4, exec_lo
	global_load_b64 v[6:7], v2, s[34:35] offset:24 scope:SCOPE_SYS
	s_wait_loadcnt 0x0
	global_inv scope:SCOPE_SYS
	s_clause 0x1
	global_load_b64 v[4:5], v2, s[34:35] offset:40
	global_load_b64 v[8:9], v2, s[34:35]
	s_wait_loadcnt 0x1
	v_and_b32_e32 v4, v4, v6
	v_and_b32_e32 v5, v5, v7
	s_delay_alu instid0(VALU_DEP_1) | instskip(SKIP_1) | instid1(VALU_DEP_1)
	v_mul_u64_e32 v[4:5], 24, v[4:5]
	s_wait_loadcnt 0x0
	v_add_nc_u64_e32 v[4:5], v[8:9], v[4:5]
	global_load_b64 v[4:5], v[4:5], off scope:SCOPE_SYS
	s_wait_xcnt 0x0
	s_wait_loadcnt 0x0
	global_atomic_cmpswap_b64 v[8:9], v2, v[4:7], s[34:35] offset:24 th:TH_ATOMIC_RETURN scope:SCOPE_SYS
	s_wait_loadcnt 0x0
	global_inv scope:SCOPE_SYS
	s_wait_xcnt 0x0
	v_cmpx_ne_u64_e64 v[8:9], v[6:7]
	s_cbranch_execz .LBB5_244
; %bb.241:
	s_mov_b32 s5, 0
.LBB5_242:                              ; =>This Inner Loop Header: Depth=1
	s_sleep 1
	s_clause 0x1
	global_load_b64 v[4:5], v2, s[34:35] offset:40
	global_load_b64 v[10:11], v2, s[34:35]
	v_mov_b64_e32 v[6:7], v[8:9]
	s_wait_loadcnt 0x1
	s_delay_alu instid0(VALU_DEP_1) | instskip(SKIP_1) | instid1(VALU_DEP_1)
	v_and_b32_e32 v3, v4, v6
	s_wait_loadcnt 0x0
	v_mad_nc_u64_u32 v[8:9], v3, 24, v[10:11]
	s_delay_alu instid0(VALU_DEP_3) | instskip(NEXT) | instid1(VALU_DEP_1)
	v_and_b32_e32 v3, v5, v7
	v_mad_u32 v9, v3, 24, v9
	global_load_b64 v[4:5], v[8:9], off scope:SCOPE_SYS
	s_wait_xcnt 0x0
	s_wait_loadcnt 0x0
	global_atomic_cmpswap_b64 v[8:9], v2, v[4:7], s[34:35] offset:24 th:TH_ATOMIC_RETURN scope:SCOPE_SYS
	s_wait_loadcnt 0x0
	global_inv scope:SCOPE_SYS
	v_cmp_eq_u64_e32 vcc_lo, v[8:9], v[6:7]
	s_or_b32 s5, vcc_lo, s5
	s_wait_xcnt 0x0
	s_and_not1_b32 exec_lo, exec_lo, s5
	s_cbranch_execnz .LBB5_242
; %bb.243:
	s_or_b32 exec_lo, exec_lo, s5
.LBB5_244:
	s_delay_alu instid0(SALU_CYCLE_1)
	s_or_b32 exec_lo, exec_lo, s4
.LBB5_245:
	s_delay_alu instid0(SALU_CYCLE_1)
	s_or_b32 exec_lo, exec_lo, s3
	v_readfirstlane_b32 s4, v8
	v_mov_b32_e32 v2, 0
	v_readfirstlane_b32 s5, v9
	s_mov_b32 s3, exec_lo
	s_clause 0x1
	global_load_b64 v[10:11], v2, s[34:35] offset:40
	global_load_b128 v[4:7], v2, s[34:35]
	s_wait_loadcnt 0x1
	v_and_b32_e32 v10, s4, v10
	v_and_b32_e32 v11, s5, v11
	s_delay_alu instid0(VALU_DEP_1) | instskip(SKIP_1) | instid1(VALU_DEP_1)
	v_mul_u64_e32 v[8:9], 24, v[10:11]
	s_wait_loadcnt 0x0
	v_add_nc_u64_e32 v[8:9], v[4:5], v[8:9]
	s_wait_xcnt 0x0
	s_and_saveexec_b32 s6, s2
	s_cbranch_execz .LBB5_247
; %bb.246:
	v_mov_b64_e32 v[14:15], 0x100000002
	v_dual_mov_b32 v12, s3 :: v_dual_mov_b32 v13, v2
	global_store_b128 v[8:9], v[12:15], off offset:8
.LBB5_247:
	s_wait_xcnt 0x0
	s_or_b32 exec_lo, exec_lo, s6
	v_lshlrev_b64_e32 v[10:11], 12, v[10:11]
	s_mov_b32 s8, 0
	v_and_or_b32 v0, 0xffffff1d, v0, 34
	s_mov_b32 s10, s8
	s_mov_b32 s11, s8
	;; [unrolled: 1-line block ×3, first 2 shown]
	v_mov_b32_e32 v3, v2
	v_add_nc_u64_e32 v[6:7], v[6:7], v[10:11]
	v_mov_b64_e32 v[12:13], s[10:11]
	v_mov_b64_e32 v[10:11], s[8:9]
	s_delay_alu instid0(VALU_DEP_3) | instskip(NEXT) | instid1(VALU_DEP_4)
	v_readfirstlane_b32 s6, v6
	v_readfirstlane_b32 s7, v7
	s_clause 0x3
	global_store_b128 v42, v[0:3], s[6:7]
	global_store_b128 v42, v[10:13], s[6:7] offset:16
	global_store_b128 v42, v[10:13], s[6:7] offset:32
	;; [unrolled: 1-line block ×3, first 2 shown]
	s_wait_xcnt 0x0
	s_and_saveexec_b32 s3, s2
	s_cbranch_execz .LBB5_255
; %bb.248:
	v_dual_mov_b32 v6, 0 :: v_dual_mov_b32 v11, s5
	s_mov_b32 s6, exec_lo
	s_clause 0x1
	global_load_b64 v[12:13], v6, s[34:35] offset:32 scope:SCOPE_SYS
	global_load_b64 v[0:1], v6, s[34:35] offset:40
	s_wait_loadcnt 0x0
	v_dual_mov_b32 v10, s4 :: v_dual_bitop2_b32 v1, s5, v1 bitop3:0x40
	v_and_b32_e32 v0, s4, v0
	s_delay_alu instid0(VALU_DEP_1) | instskip(NEXT) | instid1(VALU_DEP_1)
	v_mul_u64_e32 v[0:1], 24, v[0:1]
	v_add_nc_u64_e32 v[4:5], v[4:5], v[0:1]
	global_store_b64 v[4:5], v[12:13], off
	global_wb scope:SCOPE_SYS
	s_wait_storecnt 0x0
	s_wait_xcnt 0x0
	global_atomic_cmpswap_b64 v[2:3], v6, v[10:13], s[34:35] offset:32 th:TH_ATOMIC_RETURN scope:SCOPE_SYS
	s_wait_loadcnt 0x0
	v_cmpx_ne_u64_e64 v[2:3], v[12:13]
	s_cbranch_execz .LBB5_251
; %bb.249:
	s_mov_b32 s7, 0
.LBB5_250:                              ; =>This Inner Loop Header: Depth=1
	v_dual_mov_b32 v0, s4 :: v_dual_mov_b32 v1, s5
	s_sleep 1
	global_store_b64 v[4:5], v[2:3], off
	global_wb scope:SCOPE_SYS
	s_wait_storecnt 0x0
	s_wait_xcnt 0x0
	global_atomic_cmpswap_b64 v[0:1], v6, v[0:3], s[34:35] offset:32 th:TH_ATOMIC_RETURN scope:SCOPE_SYS
	s_wait_loadcnt 0x0
	v_cmp_eq_u64_e32 vcc_lo, v[0:1], v[2:3]
	v_mov_b64_e32 v[2:3], v[0:1]
	s_or_b32 s7, vcc_lo, s7
	s_delay_alu instid0(SALU_CYCLE_1)
	s_and_not1_b32 exec_lo, exec_lo, s7
	s_cbranch_execnz .LBB5_250
.LBB5_251:
	s_or_b32 exec_lo, exec_lo, s6
	v_mov_b32_e32 v3, 0
	s_mov_b32 s7, exec_lo
	s_mov_b32 s6, exec_lo
	v_mbcnt_lo_u32_b32 v2, s7, 0
	global_load_b64 v[0:1], v3, s[34:35] offset:16
	s_wait_xcnt 0x0
	v_cmpx_eq_u32_e32 0, v2
	s_cbranch_execz .LBB5_253
; %bb.252:
	s_bcnt1_i32_b32 s7, s7
	s_delay_alu instid0(SALU_CYCLE_1)
	v_mov_b32_e32 v2, s7
	global_wb scope:SCOPE_SYS
	s_wait_loadcnt 0x0
	s_wait_storecnt 0x0
	global_atomic_add_u64 v[0:1], v[2:3], off offset:8 scope:SCOPE_SYS
.LBB5_253:
	s_wait_xcnt 0x0
	s_or_b32 exec_lo, exec_lo, s6
	s_wait_loadcnt 0x0
	global_load_b64 v[2:3], v[0:1], off offset:16
	s_wait_loadcnt 0x0
	v_cmp_eq_u64_e32 vcc_lo, 0, v[2:3]
	s_cbranch_vccnz .LBB5_255
; %bb.254:
	global_load_b32 v0, v[0:1], off offset:24
	s_wait_xcnt 0x0
	v_mov_b32_e32 v1, 0
	s_wait_loadcnt 0x0
	v_readfirstlane_b32 s6, v0
	global_wb scope:SCOPE_SYS
	s_wait_storecnt 0x0
	global_store_b64 v[2:3], v[0:1], off scope:SCOPE_SYS
	s_and_b32 m0, s6, 0xffffff
	s_sendmsg sendmsg(MSG_INTERRUPT)
.LBB5_255:
	s_wait_xcnt 0x0
	s_or_b32 exec_lo, exec_lo, s3
	s_branch .LBB5_259
.LBB5_256:                              ;   in Loop: Header=BB5_259 Depth=1
	s_wait_xcnt 0x0
	s_or_b32 exec_lo, exec_lo, s3
	s_delay_alu instid0(VALU_DEP_1)
	v_readfirstlane_b32 s3, v0
	s_cmp_eq_u32 s3, 0
	s_cbranch_scc1 .LBB5_258
; %bb.257:                              ;   in Loop: Header=BB5_259 Depth=1
	s_sleep 1
	s_cbranch_execnz .LBB5_259
	s_branch .LBB5_261
.LBB5_258:
	s_branch .LBB5_261
.LBB5_259:                              ; =>This Inner Loop Header: Depth=1
	v_mov_b32_e32 v0, 1
	s_and_saveexec_b32 s3, s2
	s_cbranch_execz .LBB5_256
; %bb.260:                              ;   in Loop: Header=BB5_259 Depth=1
	global_load_b32 v0, v[8:9], off offset:20 scope:SCOPE_SYS
	s_wait_loadcnt 0x0
	global_inv scope:SCOPE_SYS
	v_and_b32_e32 v0, 1, v0
	s_branch .LBB5_256
.LBB5_261:
	s_and_saveexec_b32 s6, s2
	s_cbranch_execz .LBB5_265
; %bb.262:
	v_mov_b32_e32 v6, 0
	s_clause 0x2
	global_load_b64 v[0:1], v6, s[34:35] offset:40
	global_load_b64 v[10:11], v6, s[34:35] offset:24 scope:SCOPE_SYS
	global_load_b64 v[2:3], v6, s[34:35]
	s_wait_loadcnt 0x2
	v_readfirstlane_b32 s8, v0
	v_readfirstlane_b32 s9, v1
	s_add_nc_u64 s[2:3], s[8:9], 1
	s_delay_alu instid0(SALU_CYCLE_1) | instskip(NEXT) | instid1(SALU_CYCLE_1)
	s_add_nc_u64 s[4:5], s[2:3], s[4:5]
	s_cmp_eq_u64 s[4:5], 0
	s_cselect_b32 s3, s3, s5
	s_cselect_b32 s2, s2, s4
	v_mov_b32_e32 v9, s3
	s_and_b64 s[4:5], s[2:3], s[8:9]
	v_mov_b32_e32 v8, s2
	s_mul_u64 s[4:5], s[4:5], 24
	s_wait_loadcnt 0x0
	v_add_nc_u64_e32 v[4:5], s[4:5], v[2:3]
	global_store_b64 v[4:5], v[10:11], off
	global_wb scope:SCOPE_SYS
	s_wait_storecnt 0x0
	s_wait_xcnt 0x0
	global_atomic_cmpswap_b64 v[2:3], v6, v[8:11], s[34:35] offset:24 th:TH_ATOMIC_RETURN scope:SCOPE_SYS
	s_wait_loadcnt 0x0
	v_cmp_ne_u64_e32 vcc_lo, v[2:3], v[10:11]
	s_and_b32 exec_lo, exec_lo, vcc_lo
	s_cbranch_execz .LBB5_265
; %bb.263:
	s_mov_b32 s4, 0
.LBB5_264:                              ; =>This Inner Loop Header: Depth=1
	v_dual_mov_b32 v0, s2 :: v_dual_mov_b32 v1, s3
	s_sleep 1
	global_store_b64 v[4:5], v[2:3], off
	global_wb scope:SCOPE_SYS
	s_wait_storecnt 0x0
	s_wait_xcnt 0x0
	global_atomic_cmpswap_b64 v[0:1], v6, v[0:3], s[34:35] offset:24 th:TH_ATOMIC_RETURN scope:SCOPE_SYS
	s_wait_loadcnt 0x0
	v_cmp_eq_u64_e32 vcc_lo, v[0:1], v[2:3]
	v_mov_b64_e32 v[2:3], v[0:1]
	s_or_b32 s4, vcc_lo, s4
	s_delay_alu instid0(SALU_CYCLE_1)
	s_and_not1_b32 exec_lo, exec_lo, s4
	s_cbranch_execnz .LBB5_264
.LBB5_265:
	s_or_b32 exec_lo, exec_lo, s6
.LBB5_266:
	s_load_b512 s[16:31], s[0:1], 0x0
	s_wait_loadcnt 0x0
	v_mov_b32_e32 v1, 0
	s_get_pc_i64 s[36:37]
	s_add_nc_u64 s[36:37], s[36:37], .str.2@rel64+4
	s_get_pc_i64 s[38:39]
	s_add_nc_u64 s[38:39], s[38:39], .str.4@rel64+4
	;; [unrolled: 2-line block ×3, first 2 shown]
	s_wait_kmcnt 0x0
	global_load_b32 v39, v1, s[16:17]
	s_wait_loadcnt 0x0
	v_cmp_gt_i32_e32 vcc_lo, 1, v39
	s_cbranch_vccnz .LBB5_1532
; %bb.267:
	s_get_pc_i64 s[8:9]
	s_add_nc_u64 s[8:9], s[8:9], .str.3@rel64+4
	s_cmp_lg_u64 s[36:37], 0
	s_mov_b32 s43, 0
	s_get_pc_i64 s[10:11]
	s_add_nc_u64 s[10:11], s[10:11], .str.6@rel64+4
	s_cselect_b32 s33, -1, 0
	s_cmp_lg_u64 s[8:9], 0
	s_mov_b32 s6, s43
	s_mov_b32 s7, s43
	;; [unrolled: 1-line block ×4, first 2 shown]
	s_get_pc_i64 s[12:13]
	s_add_nc_u64 s[12:13], s[12:13], .str.7@rel64+4
	s_cselect_b32 s56, -1, 0
	s_cmp_lg_u64 s[10:11], 0
	v_mov_b64_e32 v[14:15], s[6:7]
	v_mov_b64_e32 v[2:3], 0x100000002
	;; [unrolled: 1-line block ×3, first 2 shown]
	s_get_pc_i64 s[14:15]
	s_add_nc_u64 s[14:15], s[14:15], .str.8@rel64+4
	s_cselect_b32 s57, -1, 0
	s_cmp_lg_u64 s[12:13], 0
	v_dual_mov_b32 v40, v42 :: v_dual_mov_b32 v41, v1
	v_dual_mov_b32 v4, 33 :: v_dual_mov_b32 v8, 33
	;; [unrolled: 1-line block ×3, first 2 shown]
	v_mov_b32_e32 v11, v1
	s_cselect_b32 s58, -1, 0
	s_cmp_lg_u64 s[14:15], 0
	s_mov_b32 s42, s43
	s_cselect_b32 s59, -1, 0
	s_branch .LBB5_270
.LBB5_268:                              ;   in Loop: Header=BB5_270 Depth=1
	s_or_b32 exec_lo, exec_lo, s46
.LBB5_269:                              ;   in Loop: Header=BB5_270 Depth=1
	global_load_b32 v39, v1, s[16:17]
	s_add_co_i32 s42, s42, 1
	s_wait_loadcnt 0x0
	v_cmp_ge_i32_e32 vcc_lo, s42, v39
	s_cbranch_vccnz .LBB5_1532
.LBB5_270:                              ; =>This Loop Header: Depth=1
                                        ;     Child Loop BB5_273 Depth 2
                                        ;     Child Loop BB5_281 Depth 2
	;; [unrolled: 1-line block ×9, first 2 shown]
                                        ;       Child Loop BB5_302 Depth 3
                                        ;       Child Loop BB5_309 Depth 3
	;; [unrolled: 1-line block ×11, first 2 shown]
                                        ;     Child Loop BB5_406 Depth 2
                                        ;     Child Loop BB5_414 Depth 2
	;; [unrolled: 1-line block ×13, first 2 shown]
                                        ;       Child Loop BB5_734 Depth 3
                                        ;       Child Loop BB5_741 Depth 3
	;; [unrolled: 1-line block ×11, first 2 shown]
                                        ;     Child Loop BB5_433 Depth 2
                                        ;     Child Loop BB5_441 Depth 2
	;; [unrolled: 1-line block ×9, first 2 shown]
                                        ;       Child Loop BB5_462 Depth 3
                                        ;       Child Loop BB5_469 Depth 3
	;; [unrolled: 1-line block ×11, first 2 shown]
                                        ;     Child Loop BB5_566 Depth 2
                                        ;     Child Loop BB5_651 Depth 2
	;; [unrolled: 1-line block ×6, first 2 shown]
                                        ;       Child Loop BB5_574 Depth 3
                                        ;       Child Loop BB5_581 Depth 3
	;; [unrolled: 1-line block ×11, first 2 shown]
                                        ;     Child Loop BB5_678 Depth 2
                                        ;     Child Loop BB5_686 Depth 2
	;; [unrolled: 1-line block ×13, first 2 shown]
                                        ;       Child Loop BB5_1140 Depth 3
                                        ;       Child Loop BB5_1147 Depth 3
                                        ;       Child Loop BB5_1154 Depth 3
                                        ;       Child Loop BB5_1161 Depth 3
                                        ;       Child Loop BB5_1168 Depth 3
                                        ;       Child Loop BB5_1175 Depth 3
                                        ;       Child Loop BB5_1182 Depth 3
                                        ;       Child Loop BB5_1189 Depth 3
                                        ;       Child Loop BB5_1197 Depth 3
                                        ;       Child Loop BB5_1206 Depth 3
                                        ;       Child Loop BB5_1211 Depth 3
                                        ;     Child Loop BB5_839 Depth 2
                                        ;     Child Loop BB5_847 Depth 2
	;; [unrolled: 1-line block ×9, first 2 shown]
                                        ;       Child Loop BB5_868 Depth 3
                                        ;       Child Loop BB5_875 Depth 3
	;; [unrolled: 1-line block ×11, first 2 shown]
                                        ;     Child Loop BB5_972 Depth 2
                                        ;     Child Loop BB5_1057 Depth 2
	;; [unrolled: 1-line block ×6, first 2 shown]
                                        ;       Child Loop BB5_980 Depth 3
                                        ;       Child Loop BB5_987 Depth 3
	;; [unrolled: 1-line block ×11, first 2 shown]
                                        ;     Child Loop BB5_1084 Depth 2
                                        ;     Child Loop BB5_1092 Depth 2
	;; [unrolled: 1-line block ×13, first 2 shown]
                                        ;       Child Loop BB5_1273 Depth 3
                                        ;       Child Loop BB5_1280 Depth 3
                                        ;       Child Loop BB5_1287 Depth 3
                                        ;       Child Loop BB5_1294 Depth 3
                                        ;       Child Loop BB5_1301 Depth 3
                                        ;       Child Loop BB5_1308 Depth 3
                                        ;       Child Loop BB5_1315 Depth 3
                                        ;       Child Loop BB5_1322 Depth 3
                                        ;       Child Loop BB5_1330 Depth 3
                                        ;       Child Loop BB5_1339 Depth 3
                                        ;       Child Loop BB5_1344 Depth 3
                                        ;     Child Loop BB5_1377 Depth 2
                                        ;     Child Loop BB5_1385 Depth 2
	;; [unrolled: 1-line block ×13, first 2 shown]
                                        ;       Child Loop BB5_1432 Depth 3
                                        ;       Child Loop BB5_1439 Depth 3
	;; [unrolled: 1-line block ×11, first 2 shown]
	v_readfirstlane_b32 s2, v56
	v_mov_b64_e32 v[6:7], 0
	s_delay_alu instid0(VALU_DEP_2)
	v_cmp_eq_u32_e64 s2, s2, v56
	s_wait_xcnt 0x0
	s_and_saveexec_b32 s3, s2
	s_cbranch_execz .LBB5_276
; %bb.271:                              ;   in Loop: Header=BB5_270 Depth=1
	global_load_b64 v[18:19], v1, s[34:35] offset:24 scope:SCOPE_SYS
	s_wait_loadcnt 0x0
	global_inv scope:SCOPE_SYS
	s_clause 0x1
	global_load_b64 v[6:7], v1, s[34:35] offset:40
	global_load_b64 v[16:17], v1, s[34:35]
	s_mov_b32 s44, exec_lo
	s_wait_loadcnt 0x1
	v_and_b32_e32 v6, v6, v18
	v_and_b32_e32 v7, v7, v19
	s_delay_alu instid0(VALU_DEP_1) | instskip(SKIP_1) | instid1(VALU_DEP_1)
	v_mul_u64_e32 v[6:7], 24, v[6:7]
	s_wait_loadcnt 0x0
	v_add_nc_u64_e32 v[6:7], v[16:17], v[6:7]
	global_load_b64 v[16:17], v[6:7], off scope:SCOPE_SYS
	s_wait_xcnt 0x0
	s_wait_loadcnt 0x0
	global_atomic_cmpswap_b64 v[6:7], v1, v[16:19], s[34:35] offset:24 th:TH_ATOMIC_RETURN scope:SCOPE_SYS
	s_wait_loadcnt 0x0
	global_inv scope:SCOPE_SYS
	s_wait_xcnt 0x0
	v_cmpx_ne_u64_e64 v[6:7], v[18:19]
	s_cbranch_execz .LBB5_275
; %bb.272:                              ;   in Loop: Header=BB5_270 Depth=1
	s_mov_b32 s45, 0
.LBB5_273:                              ;   Parent Loop BB5_270 Depth=1
                                        ; =>  This Inner Loop Header: Depth=2
	s_sleep 1
	s_clause 0x1
	global_load_b64 v[16:17], v1, s[34:35] offset:40
	global_load_b64 v[20:21], v1, s[34:35]
	v_mov_b64_e32 v[18:19], v[6:7]
	s_wait_loadcnt 0x1
	s_delay_alu instid0(VALU_DEP_1) | instskip(SKIP_1) | instid1(VALU_DEP_1)
	v_and_b32_e32 v0, v16, v18
	s_wait_loadcnt 0x0
	v_mad_nc_u64_u32 v[6:7], v0, 24, v[20:21]
	s_delay_alu instid0(VALU_DEP_3) | instskip(NEXT) | instid1(VALU_DEP_1)
	v_and_b32_e32 v0, v17, v19
	v_mad_u32 v7, v0, 24, v7
	global_load_b64 v[16:17], v[6:7], off scope:SCOPE_SYS
	s_wait_xcnt 0x0
	s_wait_loadcnt 0x0
	global_atomic_cmpswap_b64 v[6:7], v1, v[16:19], s[34:35] offset:24 th:TH_ATOMIC_RETURN scope:SCOPE_SYS
	s_wait_loadcnt 0x0
	global_inv scope:SCOPE_SYS
	v_cmp_eq_u64_e32 vcc_lo, v[6:7], v[18:19]
	s_or_b32 s45, vcc_lo, s45
	s_wait_xcnt 0x0
	s_and_not1_b32 exec_lo, exec_lo, s45
	s_cbranch_execnz .LBB5_273
; %bb.274:                              ;   in Loop: Header=BB5_270 Depth=1
	s_or_b32 exec_lo, exec_lo, s45
.LBB5_275:                              ;   in Loop: Header=BB5_270 Depth=1
	s_delay_alu instid0(SALU_CYCLE_1)
	s_or_b32 exec_lo, exec_lo, s44
.LBB5_276:                              ;   in Loop: Header=BB5_270 Depth=1
	s_delay_alu instid0(SALU_CYCLE_1)
	s_or_b32 exec_lo, exec_lo, s3
	s_clause 0x1
	global_load_b64 v[20:21], v1, s[34:35] offset:40
	global_load_b128 v[16:19], v1, s[34:35]
	v_readfirstlane_b32 s44, v6
	v_readfirstlane_b32 s45, v7
	s_mov_b32 s3, exec_lo
	s_wait_loadcnt 0x1
	v_and_b32_e32 v20, s44, v20
	v_and_b32_e32 v21, s45, v21
	s_delay_alu instid0(VALU_DEP_1) | instskip(SKIP_1) | instid1(VALU_DEP_1)
	v_mul_u64_e32 v[6:7], 24, v[20:21]
	s_wait_loadcnt 0x0
	v_add_nc_u64_e32 v[6:7], v[16:17], v[6:7]
	s_wait_xcnt 0x0
	s_and_saveexec_b32 s46, s2
	s_cbranch_execz .LBB5_278
; %bb.277:                              ;   in Loop: Header=BB5_270 Depth=1
	v_mov_b32_e32 v0, s3
	global_store_b128 v[6:7], v[0:3], off offset:8
.LBB5_278:                              ;   in Loop: Header=BB5_270 Depth=1
	s_wait_xcnt 0x0
	s_or_b32 exec_lo, exec_lo, s46
	v_lshlrev_b64_e32 v[20:21], 12, v[20:21]
	s_delay_alu instid0(VALU_DEP_1) | instskip(NEXT) | instid1(VALU_DEP_1)
	v_add_nc_u64_e32 v[20:21], v[18:19], v[20:21]
	v_readfirstlane_b32 s46, v20
	s_delay_alu instid0(VALU_DEP_2)
	v_readfirstlane_b32 s47, v21
	s_clause 0x3
	global_store_b128 v42, v[8:11], s[46:47]
	global_store_b128 v42, v[12:15], s[46:47] offset:16
	global_store_b128 v42, v[12:15], s[46:47] offset:32
	;; [unrolled: 1-line block ×3, first 2 shown]
	s_wait_xcnt 0x0
	s_and_saveexec_b32 s3, s2
	s_cbranch_execz .LBB5_286
; %bb.279:                              ;   in Loop: Header=BB5_270 Depth=1
	s_clause 0x1
	global_load_b64 v[26:27], v1, s[34:35] offset:32 scope:SCOPE_SYS
	global_load_b64 v[18:19], v1, s[34:35] offset:40
	s_mov_b32 s46, exec_lo
	v_dual_mov_b32 v24, s44 :: v_dual_mov_b32 v25, s45
	s_wait_loadcnt 0x0
	v_and_b32_e32 v19, s45, v19
	v_and_b32_e32 v18, s44, v18
	s_delay_alu instid0(VALU_DEP_1) | instskip(NEXT) | instid1(VALU_DEP_1)
	v_mul_u64_e32 v[18:19], 24, v[18:19]
	v_add_nc_u64_e32 v[22:23], v[16:17], v[18:19]
	global_store_b64 v[22:23], v[26:27], off
	global_wb scope:SCOPE_SYS
	s_wait_storecnt 0x0
	s_wait_xcnt 0x0
	global_atomic_cmpswap_b64 v[18:19], v1, v[24:27], s[34:35] offset:32 th:TH_ATOMIC_RETURN scope:SCOPE_SYS
	s_wait_loadcnt 0x0
	s_wait_xcnt 0x0
	v_cmpx_ne_u64_e64 v[18:19], v[26:27]
	s_cbranch_execz .LBB5_282
; %bb.280:                              ;   in Loop: Header=BB5_270 Depth=1
	s_mov_b32 s47, 0
.LBB5_281:                              ;   Parent Loop BB5_270 Depth=1
                                        ; =>  This Inner Loop Header: Depth=2
	v_dual_mov_b32 v16, s44 :: v_dual_mov_b32 v17, s45
	s_sleep 1
	global_store_b64 v[22:23], v[18:19], off
	global_wb scope:SCOPE_SYS
	s_wait_storecnt 0x0
	s_wait_xcnt 0x0
	global_atomic_cmpswap_b64 v[16:17], v1, v[16:19], s[34:35] offset:32 th:TH_ATOMIC_RETURN scope:SCOPE_SYS
	s_wait_loadcnt 0x0
	v_cmp_eq_u64_e32 vcc_lo, v[16:17], v[18:19]
	s_wait_xcnt 0x0
	v_mov_b64_e32 v[18:19], v[16:17]
	s_or_b32 s47, vcc_lo, s47
	s_delay_alu instid0(SALU_CYCLE_1)
	s_and_not1_b32 exec_lo, exec_lo, s47
	s_cbranch_execnz .LBB5_281
.LBB5_282:                              ;   in Loop: Header=BB5_270 Depth=1
	s_or_b32 exec_lo, exec_lo, s46
	global_load_b64 v[16:17], v1, s[34:35] offset:16
	s_mov_b32 s47, exec_lo
	s_mov_b32 s46, exec_lo
	v_mbcnt_lo_u32_b32 v0, s47, 0
	s_wait_xcnt 0x0
	s_delay_alu instid0(VALU_DEP_1)
	v_cmpx_eq_u32_e32 0, v0
	s_cbranch_execz .LBB5_284
; %bb.283:                              ;   in Loop: Header=BB5_270 Depth=1
	s_bcnt1_i32_b32 s47, s47
	s_delay_alu instid0(SALU_CYCLE_1)
	v_mov_b32_e32 v0, s47
	global_wb scope:SCOPE_SYS
	s_wait_loadcnt 0x0
	s_wait_storecnt 0x0
	global_atomic_add_u64 v[16:17], v[0:1], off offset:8 scope:SCOPE_SYS
.LBB5_284:                              ;   in Loop: Header=BB5_270 Depth=1
	s_wait_xcnt 0x0
	s_or_b32 exec_lo, exec_lo, s46
	s_wait_loadcnt 0x0
	global_load_b64 v[18:19], v[16:17], off offset:16
	s_wait_loadcnt 0x0
	v_cmp_eq_u64_e32 vcc_lo, 0, v[18:19]
	s_cbranch_vccnz .LBB5_286
; %bb.285:                              ;   in Loop: Header=BB5_270 Depth=1
	global_load_b32 v0, v[16:17], off offset:24
	s_wait_loadcnt 0x0
	v_readfirstlane_b32 s46, v0
	global_wb scope:SCOPE_SYS
	s_wait_storecnt 0x0
	s_wait_xcnt 0x0
	global_store_b64 v[18:19], v[0:1], off scope:SCOPE_SYS
	s_and_b32 m0, s46, 0xffffff
	s_sendmsg sendmsg(MSG_INTERRUPT)
.LBB5_286:                              ;   in Loop: Header=BB5_270 Depth=1
	s_wait_xcnt 0x0
	s_or_b32 exec_lo, exec_lo, s3
	v_add_nc_u64_e32 v[16:17], v[20:21], v[40:41]
	s_branch .LBB5_290
.LBB5_287:                              ;   in Loop: Header=BB5_290 Depth=2
	s_wait_xcnt 0x0
	s_or_b32 exec_lo, exec_lo, s3
	s_delay_alu instid0(VALU_DEP_1)
	v_readfirstlane_b32 s3, v0
	s_cmp_eq_u32 s3, 0
	s_cbranch_scc1 .LBB5_289
; %bb.288:                              ;   in Loop: Header=BB5_290 Depth=2
	s_sleep 1
	s_cbranch_execnz .LBB5_290
	s_branch .LBB5_292
.LBB5_289:                              ;   in Loop: Header=BB5_270 Depth=1
	s_branch .LBB5_292
.LBB5_290:                              ;   Parent Loop BB5_270 Depth=1
                                        ; =>  This Inner Loop Header: Depth=2
	v_mov_b32_e32 v0, 1
	s_and_saveexec_b32 s3, s2
	s_cbranch_execz .LBB5_287
; %bb.291:                              ;   in Loop: Header=BB5_290 Depth=2
	global_load_b32 v0, v[6:7], off offset:20 scope:SCOPE_SYS
	s_wait_loadcnt 0x0
	global_inv scope:SCOPE_SYS
	v_and_b32_e32 v0, 1, v0
	s_branch .LBB5_287
.LBB5_292:                              ;   in Loop: Header=BB5_270 Depth=1
	global_load_b64 v[16:17], v[16:17], off
	s_wait_xcnt 0x0
	s_and_saveexec_b32 s46, s2
	s_cbranch_execz .LBB5_296
; %bb.293:                              ;   in Loop: Header=BB5_270 Depth=1
	s_clause 0x2
	global_load_b64 v[6:7], v1, s[34:35] offset:40
	global_load_b64 v[22:23], v1, s[34:35] offset:24 scope:SCOPE_SYS
	global_load_b64 v[18:19], v1, s[34:35]
	s_wait_loadcnt 0x2
	v_readfirstlane_b32 s48, v6
	v_readfirstlane_b32 s49, v7
	s_add_nc_u64 s[2:3], s[48:49], 1
	s_delay_alu instid0(SALU_CYCLE_1) | instskip(NEXT) | instid1(SALU_CYCLE_1)
	s_add_nc_u64 s[44:45], s[2:3], s[44:45]
	s_cmp_eq_u64 s[44:45], 0
	s_cselect_b32 s3, s3, s45
	s_cselect_b32 s2, s2, s44
	s_delay_alu instid0(SALU_CYCLE_1) | instskip(SKIP_1) | instid1(SALU_CYCLE_1)
	v_dual_mov_b32 v21, s3 :: v_dual_mov_b32 v20, s2
	s_and_b64 s[44:45], s[2:3], s[48:49]
	s_mul_u64 s[44:45], s[44:45], 24
	s_wait_loadcnt 0x0
	v_add_nc_u64_e32 v[6:7], s[44:45], v[18:19]
	global_store_b64 v[6:7], v[22:23], off
	global_wb scope:SCOPE_SYS
	s_wait_storecnt 0x0
	s_wait_xcnt 0x0
	global_atomic_cmpswap_b64 v[20:21], v1, v[20:23], s[34:35] offset:24 th:TH_ATOMIC_RETURN scope:SCOPE_SYS
	s_wait_loadcnt 0x0
	v_cmp_ne_u64_e32 vcc_lo, v[20:21], v[22:23]
	s_and_b32 exec_lo, exec_lo, vcc_lo
	s_cbranch_execz .LBB5_296
; %bb.294:                              ;   in Loop: Header=BB5_270 Depth=1
	s_mov_b32 s44, 0
.LBB5_295:                              ;   Parent Loop BB5_270 Depth=1
                                        ; =>  This Inner Loop Header: Depth=2
	v_dual_mov_b32 v18, s2 :: v_dual_mov_b32 v19, s3
	s_sleep 1
	global_store_b64 v[6:7], v[20:21], off
	global_wb scope:SCOPE_SYS
	s_wait_storecnt 0x0
	s_wait_xcnt 0x0
	global_atomic_cmpswap_b64 v[18:19], v1, v[18:21], s[34:35] offset:24 th:TH_ATOMIC_RETURN scope:SCOPE_SYS
	s_wait_loadcnt 0x0
	v_cmp_eq_u64_e32 vcc_lo, v[18:19], v[20:21]
	v_mov_b64_e32 v[20:21], v[18:19]
	s_or_b32 s44, vcc_lo, s44
	s_delay_alu instid0(SALU_CYCLE_1)
	s_and_not1_b32 exec_lo, exec_lo, s44
	s_cbranch_execnz .LBB5_295
.LBB5_296:                              ;   in Loop: Header=BB5_270 Depth=1
	s_or_b32 exec_lo, exec_lo, s46
	s_delay_alu instid0(SALU_CYCLE_1)
	s_and_b32 vcc_lo, exec_lo, s33
	s_cbranch_vccz .LBB5_375
; %bb.297:                              ;   in Loop: Header=BB5_270 Depth=1
	s_wait_loadcnt 0x0
	v_dual_mov_b32 v19, v17 :: v_dual_bitop2_b32 v6, 2, v16 bitop3:0x40
	v_and_b32_e32 v18, -3, v16
	s_mov_b64 s[44:45], 4
	s_mov_b64 s[46:47], s[36:37]
	s_branch .LBB5_299
.LBB5_298:                              ;   in Loop: Header=BB5_299 Depth=2
	s_or_b32 exec_lo, exec_lo, s52
	s_sub_nc_u64 s[44:45], s[44:45], s[48:49]
	s_add_nc_u64 s[46:47], s[46:47], s[48:49]
	s_cmp_lg_u64 s[44:45], 0
	s_cbranch_scc0 .LBB5_374
.LBB5_299:                              ;   Parent Loop BB5_270 Depth=1
                                        ; =>  This Loop Header: Depth=2
                                        ;       Child Loop BB5_302 Depth 3
                                        ;       Child Loop BB5_309 Depth 3
                                        ;       Child Loop BB5_316 Depth 3
                                        ;       Child Loop BB5_323 Depth 3
                                        ;       Child Loop BB5_330 Depth 3
                                        ;       Child Loop BB5_337 Depth 3
                                        ;       Child Loop BB5_344 Depth 3
                                        ;       Child Loop BB5_351 Depth 3
                                        ;       Child Loop BB5_359 Depth 3
                                        ;       Child Loop BB5_368 Depth 3
                                        ;       Child Loop BB5_373 Depth 3
	v_min_u64 v[20:21], s[44:45], 56
	v_cmp_gt_u64_e64 s2, s[44:45], 7
	s_and_b32 vcc_lo, exec_lo, s2
	v_readfirstlane_b32 s48, v20
	v_readfirstlane_b32 s49, v21
	s_cbranch_vccnz .LBB5_304
; %bb.300:                              ;   in Loop: Header=BB5_299 Depth=2
	v_mov_b64_e32 v[20:21], 0
	s_cmp_eq_u64 s[44:45], 0
	s_cbranch_scc1 .LBB5_303
; %bb.301:                              ;   in Loop: Header=BB5_299 Depth=2
	s_mov_b64 s[2:3], 0
	s_mov_b64 s[50:51], 0
.LBB5_302:                              ;   Parent Loop BB5_270 Depth=1
                                        ;     Parent Loop BB5_299 Depth=2
                                        ; =>    This Inner Loop Header: Depth=3
	s_wait_xcnt 0x0
	s_add_nc_u64 s[52:53], s[46:47], s[50:51]
	s_add_nc_u64 s[50:51], s[50:51], 1
	global_load_u8 v0, v1, s[52:53]
	s_cmp_lg_u32 s48, s50
	s_wait_loadcnt 0x0
	v_and_b32_e32 v0, 0xffff, v0
	s_delay_alu instid0(VALU_DEP_1) | instskip(SKIP_1) | instid1(VALU_DEP_1)
	v_lshlrev_b64_e32 v[22:23], s2, v[0:1]
	s_add_nc_u64 s[2:3], s[2:3], 8
	v_or_b32_e32 v20, v22, v20
	s_delay_alu instid0(VALU_DEP_2)
	v_or_b32_e32 v21, v23, v21
	s_cbranch_scc1 .LBB5_302
.LBB5_303:                              ;   in Loop: Header=BB5_299 Depth=2
	s_mov_b64 s[2:3], s[46:47]
	s_mov_b32 s54, 0
	s_cbranch_execz .LBB5_305
	s_branch .LBB5_306
.LBB5_304:                              ;   in Loop: Header=BB5_299 Depth=2
	s_add_nc_u64 s[2:3], s[46:47], 8
	s_mov_b32 s54, 0
.LBB5_305:                              ;   in Loop: Header=BB5_299 Depth=2
	global_load_b64 v[20:21], v1, s[46:47]
	s_add_co_i32 s54, s48, -8
.LBB5_306:                              ;   in Loop: Header=BB5_299 Depth=2
	s_delay_alu instid0(SALU_CYCLE_1)
	s_cmp_gt_u32 s54, 7
	s_cbranch_scc1 .LBB5_311
; %bb.307:                              ;   in Loop: Header=BB5_299 Depth=2
	v_mov_b64_e32 v[22:23], 0
	s_cmp_eq_u32 s54, 0
	s_cbranch_scc1 .LBB5_310
; %bb.308:                              ;   in Loop: Header=BB5_299 Depth=2
	s_mov_b64 s[50:51], 0
	s_wait_xcnt 0x0
	s_mov_b64 s[52:53], 0
.LBB5_309:                              ;   Parent Loop BB5_270 Depth=1
                                        ;     Parent Loop BB5_299 Depth=2
                                        ; =>    This Inner Loop Header: Depth=3
	s_wait_xcnt 0x0
	s_add_nc_u64 s[60:61], s[2:3], s[52:53]
	s_add_nc_u64 s[52:53], s[52:53], 1
	global_load_u8 v0, v1, s[60:61]
	s_cmp_lg_u32 s54, s52
	s_wait_loadcnt 0x0
	v_and_b32_e32 v0, 0xffff, v0
	s_delay_alu instid0(VALU_DEP_1) | instskip(SKIP_1) | instid1(VALU_DEP_1)
	v_lshlrev_b64_e32 v[24:25], s50, v[0:1]
	s_add_nc_u64 s[50:51], s[50:51], 8
	v_or_b32_e32 v22, v24, v22
	s_delay_alu instid0(VALU_DEP_2)
	v_or_b32_e32 v23, v25, v23
	s_cbranch_scc1 .LBB5_309
.LBB5_310:                              ;   in Loop: Header=BB5_299 Depth=2
	s_wait_xcnt 0x0
	s_mov_b64 s[50:51], s[2:3]
	s_mov_b32 s55, 0
	s_cbranch_execz .LBB5_312
	s_branch .LBB5_313
.LBB5_311:                              ;   in Loop: Header=BB5_299 Depth=2
	s_add_nc_u64 s[50:51], s[2:3], 8
	s_wait_xcnt 0x0
                                        ; implicit-def: $vgpr22_vgpr23
	s_mov_b32 s55, 0
.LBB5_312:                              ;   in Loop: Header=BB5_299 Depth=2
	global_load_b64 v[22:23], v1, s[2:3]
	s_add_co_i32 s55, s54, -8
.LBB5_313:                              ;   in Loop: Header=BB5_299 Depth=2
	s_delay_alu instid0(SALU_CYCLE_1)
	s_cmp_gt_u32 s55, 7
	s_cbranch_scc1 .LBB5_318
; %bb.314:                              ;   in Loop: Header=BB5_299 Depth=2
	v_mov_b64_e32 v[24:25], 0
	s_cmp_eq_u32 s55, 0
	s_cbranch_scc1 .LBB5_317
; %bb.315:                              ;   in Loop: Header=BB5_299 Depth=2
	s_wait_xcnt 0x0
	s_mov_b64 s[2:3], 0
	s_mov_b64 s[52:53], 0
.LBB5_316:                              ;   Parent Loop BB5_270 Depth=1
                                        ;     Parent Loop BB5_299 Depth=2
                                        ; =>    This Inner Loop Header: Depth=3
	s_wait_xcnt 0x0
	s_add_nc_u64 s[60:61], s[50:51], s[52:53]
	s_add_nc_u64 s[52:53], s[52:53], 1
	global_load_u8 v0, v1, s[60:61]
	s_cmp_lg_u32 s55, s52
	s_wait_loadcnt 0x0
	v_and_b32_e32 v0, 0xffff, v0
	s_delay_alu instid0(VALU_DEP_1) | instskip(SKIP_1) | instid1(VALU_DEP_1)
	v_lshlrev_b64_e32 v[26:27], s2, v[0:1]
	s_add_nc_u64 s[2:3], s[2:3], 8
	v_or_b32_e32 v24, v26, v24
	s_delay_alu instid0(VALU_DEP_2)
	v_or_b32_e32 v25, v27, v25
	s_cbranch_scc1 .LBB5_316
.LBB5_317:                              ;   in Loop: Header=BB5_299 Depth=2
	s_wait_xcnt 0x0
	s_mov_b64 s[2:3], s[50:51]
	s_mov_b32 s54, 0
	s_cbranch_execz .LBB5_319
	s_branch .LBB5_320
.LBB5_318:                              ;   in Loop: Header=BB5_299 Depth=2
	s_wait_xcnt 0x0
	s_add_nc_u64 s[2:3], s[50:51], 8
	s_mov_b32 s54, 0
.LBB5_319:                              ;   in Loop: Header=BB5_299 Depth=2
	global_load_b64 v[24:25], v1, s[50:51]
	s_add_co_i32 s54, s55, -8
.LBB5_320:                              ;   in Loop: Header=BB5_299 Depth=2
	s_delay_alu instid0(SALU_CYCLE_1)
	s_cmp_gt_u32 s54, 7
	s_cbranch_scc1 .LBB5_325
; %bb.321:                              ;   in Loop: Header=BB5_299 Depth=2
	v_mov_b64_e32 v[26:27], 0
	s_cmp_eq_u32 s54, 0
	s_cbranch_scc1 .LBB5_324
; %bb.322:                              ;   in Loop: Header=BB5_299 Depth=2
	s_wait_xcnt 0x0
	s_mov_b64 s[50:51], 0
	s_mov_b64 s[52:53], 0
.LBB5_323:                              ;   Parent Loop BB5_270 Depth=1
                                        ;     Parent Loop BB5_299 Depth=2
                                        ; =>    This Inner Loop Header: Depth=3
	s_wait_xcnt 0x0
	s_add_nc_u64 s[60:61], s[2:3], s[52:53]
	s_add_nc_u64 s[52:53], s[52:53], 1
	global_load_u8 v0, v1, s[60:61]
	s_cmp_lg_u32 s54, s52
	s_wait_loadcnt 0x0
	v_and_b32_e32 v0, 0xffff, v0
	s_delay_alu instid0(VALU_DEP_1) | instskip(SKIP_1) | instid1(VALU_DEP_1)
	v_lshlrev_b64_e32 v[28:29], s50, v[0:1]
	s_add_nc_u64 s[50:51], s[50:51], 8
	v_or_b32_e32 v26, v28, v26
	s_delay_alu instid0(VALU_DEP_2)
	v_or_b32_e32 v27, v29, v27
	s_cbranch_scc1 .LBB5_323
.LBB5_324:                              ;   in Loop: Header=BB5_299 Depth=2
	s_wait_xcnt 0x0
	s_mov_b64 s[50:51], s[2:3]
	s_mov_b32 s55, 0
	s_cbranch_execz .LBB5_326
	s_branch .LBB5_327
.LBB5_325:                              ;   in Loop: Header=BB5_299 Depth=2
	s_wait_xcnt 0x0
	s_add_nc_u64 s[50:51], s[2:3], 8
                                        ; implicit-def: $vgpr26_vgpr27
	s_mov_b32 s55, 0
.LBB5_326:                              ;   in Loop: Header=BB5_299 Depth=2
	global_load_b64 v[26:27], v1, s[2:3]
	s_add_co_i32 s55, s54, -8
.LBB5_327:                              ;   in Loop: Header=BB5_299 Depth=2
	s_delay_alu instid0(SALU_CYCLE_1)
	s_cmp_gt_u32 s55, 7
	s_cbranch_scc1 .LBB5_332
; %bb.328:                              ;   in Loop: Header=BB5_299 Depth=2
	v_mov_b64_e32 v[28:29], 0
	s_cmp_eq_u32 s55, 0
	s_cbranch_scc1 .LBB5_331
; %bb.329:                              ;   in Loop: Header=BB5_299 Depth=2
	s_wait_xcnt 0x0
	s_mov_b64 s[2:3], 0
	s_mov_b64 s[52:53], 0
.LBB5_330:                              ;   Parent Loop BB5_270 Depth=1
                                        ;     Parent Loop BB5_299 Depth=2
                                        ; =>    This Inner Loop Header: Depth=3
	s_wait_xcnt 0x0
	s_add_nc_u64 s[60:61], s[50:51], s[52:53]
	s_add_nc_u64 s[52:53], s[52:53], 1
	global_load_u8 v0, v1, s[60:61]
	s_cmp_lg_u32 s55, s52
	s_wait_loadcnt 0x0
	v_and_b32_e32 v0, 0xffff, v0
	s_delay_alu instid0(VALU_DEP_1) | instskip(SKIP_1) | instid1(VALU_DEP_1)
	v_lshlrev_b64_e32 v[30:31], s2, v[0:1]
	s_add_nc_u64 s[2:3], s[2:3], 8
	v_or_b32_e32 v28, v30, v28
	s_delay_alu instid0(VALU_DEP_2)
	v_or_b32_e32 v29, v31, v29
	s_cbranch_scc1 .LBB5_330
.LBB5_331:                              ;   in Loop: Header=BB5_299 Depth=2
	s_wait_xcnt 0x0
	s_mov_b64 s[2:3], s[50:51]
	s_mov_b32 s54, 0
	s_cbranch_execz .LBB5_333
	s_branch .LBB5_334
.LBB5_332:                              ;   in Loop: Header=BB5_299 Depth=2
	s_wait_xcnt 0x0
	s_add_nc_u64 s[2:3], s[50:51], 8
	s_mov_b32 s54, 0
.LBB5_333:                              ;   in Loop: Header=BB5_299 Depth=2
	global_load_b64 v[28:29], v1, s[50:51]
	s_add_co_i32 s54, s55, -8
.LBB5_334:                              ;   in Loop: Header=BB5_299 Depth=2
	s_delay_alu instid0(SALU_CYCLE_1)
	s_cmp_gt_u32 s54, 7
	s_cbranch_scc1 .LBB5_339
; %bb.335:                              ;   in Loop: Header=BB5_299 Depth=2
	v_mov_b64_e32 v[30:31], 0
	s_cmp_eq_u32 s54, 0
	s_cbranch_scc1 .LBB5_338
; %bb.336:                              ;   in Loop: Header=BB5_299 Depth=2
	s_wait_xcnt 0x0
	s_mov_b64 s[50:51], 0
	s_mov_b64 s[52:53], 0
.LBB5_337:                              ;   Parent Loop BB5_270 Depth=1
                                        ;     Parent Loop BB5_299 Depth=2
                                        ; =>    This Inner Loop Header: Depth=3
	s_wait_xcnt 0x0
	s_add_nc_u64 s[60:61], s[2:3], s[52:53]
	s_add_nc_u64 s[52:53], s[52:53], 1
	global_load_u8 v0, v1, s[60:61]
	s_cmp_lg_u32 s54, s52
	s_wait_loadcnt 0x0
	v_and_b32_e32 v0, 0xffff, v0
	s_delay_alu instid0(VALU_DEP_1) | instskip(SKIP_1) | instid1(VALU_DEP_1)
	v_lshlrev_b64_e32 v[32:33], s50, v[0:1]
	s_add_nc_u64 s[50:51], s[50:51], 8
	v_or_b32_e32 v30, v32, v30
	s_delay_alu instid0(VALU_DEP_2)
	v_or_b32_e32 v31, v33, v31
	s_cbranch_scc1 .LBB5_337
.LBB5_338:                              ;   in Loop: Header=BB5_299 Depth=2
	s_wait_xcnt 0x0
	s_mov_b64 s[50:51], s[2:3]
	s_mov_b32 s55, 0
	s_cbranch_execz .LBB5_340
	s_branch .LBB5_341
.LBB5_339:                              ;   in Loop: Header=BB5_299 Depth=2
	s_wait_xcnt 0x0
	s_add_nc_u64 s[50:51], s[2:3], 8
                                        ; implicit-def: $vgpr30_vgpr31
	s_mov_b32 s55, 0
.LBB5_340:                              ;   in Loop: Header=BB5_299 Depth=2
	global_load_b64 v[30:31], v1, s[2:3]
	s_add_co_i32 s55, s54, -8
.LBB5_341:                              ;   in Loop: Header=BB5_299 Depth=2
	s_delay_alu instid0(SALU_CYCLE_1)
	s_cmp_gt_u32 s55, 7
	s_cbranch_scc1 .LBB5_346
; %bb.342:                              ;   in Loop: Header=BB5_299 Depth=2
	v_mov_b64_e32 v[32:33], 0
	s_cmp_eq_u32 s55, 0
	s_cbranch_scc1 .LBB5_345
; %bb.343:                              ;   in Loop: Header=BB5_299 Depth=2
	s_wait_xcnt 0x0
	s_mov_b64 s[2:3], 0
	s_mov_b64 s[52:53], s[50:51]
.LBB5_344:                              ;   Parent Loop BB5_270 Depth=1
                                        ;     Parent Loop BB5_299 Depth=2
                                        ; =>    This Inner Loop Header: Depth=3
	global_load_u8 v0, v1, s[52:53]
	s_add_co_i32 s55, s55, -1
	s_wait_xcnt 0x0
	s_add_nc_u64 s[52:53], s[52:53], 1
	s_cmp_lg_u32 s55, 0
	s_wait_loadcnt 0x0
	v_and_b32_e32 v0, 0xffff, v0
	s_delay_alu instid0(VALU_DEP_1) | instskip(SKIP_1) | instid1(VALU_DEP_1)
	v_lshlrev_b64_e32 v[34:35], s2, v[0:1]
	s_add_nc_u64 s[2:3], s[2:3], 8
	v_or_b32_e32 v32, v34, v32
	s_delay_alu instid0(VALU_DEP_2)
	v_or_b32_e32 v33, v35, v33
	s_cbranch_scc1 .LBB5_344
.LBB5_345:                              ;   in Loop: Header=BB5_299 Depth=2
	s_wait_xcnt 0x0
	s_cbranch_execz .LBB5_347
	s_branch .LBB5_348
.LBB5_346:                              ;   in Loop: Header=BB5_299 Depth=2
	s_wait_xcnt 0x0
.LBB5_347:                              ;   in Loop: Header=BB5_299 Depth=2
	global_load_b64 v[32:33], v1, s[50:51]
.LBB5_348:                              ;   in Loop: Header=BB5_299 Depth=2
	v_readfirstlane_b32 s2, v56
	v_mov_b64_e32 v[38:39], 0
	s_delay_alu instid0(VALU_DEP_2)
	v_cmp_eq_u32_e64 s2, s2, v56
	s_wait_xcnt 0x0
	s_and_saveexec_b32 s3, s2
	s_cbranch_execz .LBB5_354
; %bb.349:                              ;   in Loop: Header=BB5_299 Depth=2
	global_load_b64 v[36:37], v1, s[34:35] offset:24 scope:SCOPE_SYS
	s_wait_loadcnt 0x0
	global_inv scope:SCOPE_SYS
	s_clause 0x1
	global_load_b64 v[34:35], v1, s[34:35] offset:40
	global_load_b64 v[38:39], v1, s[34:35]
	s_mov_b32 s50, exec_lo
	s_wait_loadcnt 0x1
	v_and_b32_e32 v34, v34, v36
	v_and_b32_e32 v35, v35, v37
	s_delay_alu instid0(VALU_DEP_1) | instskip(SKIP_1) | instid1(VALU_DEP_1)
	v_mul_u64_e32 v[34:35], 24, v[34:35]
	s_wait_loadcnt 0x0
	v_add_nc_u64_e32 v[34:35], v[38:39], v[34:35]
	global_load_b64 v[34:35], v[34:35], off scope:SCOPE_SYS
	s_wait_xcnt 0x0
	s_wait_loadcnt 0x0
	global_atomic_cmpswap_b64 v[38:39], v1, v[34:37], s[34:35] offset:24 th:TH_ATOMIC_RETURN scope:SCOPE_SYS
	s_wait_loadcnt 0x0
	global_inv scope:SCOPE_SYS
	s_wait_xcnt 0x0
	v_cmpx_ne_u64_e64 v[38:39], v[36:37]
	s_cbranch_execz .LBB5_353
; %bb.350:                              ;   in Loop: Header=BB5_299 Depth=2
	s_mov_b32 s51, 0
.LBB5_351:                              ;   Parent Loop BB5_270 Depth=1
                                        ;     Parent Loop BB5_299 Depth=2
                                        ; =>    This Inner Loop Header: Depth=3
	s_sleep 1
	s_clause 0x1
	global_load_b64 v[34:35], v1, s[34:35] offset:40
	global_load_b64 v[44:45], v1, s[34:35]
	v_mov_b64_e32 v[36:37], v[38:39]
	s_wait_loadcnt 0x1
	s_delay_alu instid0(VALU_DEP_1) | instskip(SKIP_1) | instid1(VALU_DEP_1)
	v_and_b32_e32 v0, v34, v36
	s_wait_loadcnt 0x0
	v_mad_nc_u64_u32 v[38:39], v0, 24, v[44:45]
	s_delay_alu instid0(VALU_DEP_3) | instskip(NEXT) | instid1(VALU_DEP_1)
	v_and_b32_e32 v0, v35, v37
	v_mad_u32 v39, v0, 24, v39
	global_load_b64 v[34:35], v[38:39], off scope:SCOPE_SYS
	s_wait_xcnt 0x0
	s_wait_loadcnt 0x0
	global_atomic_cmpswap_b64 v[38:39], v1, v[34:37], s[34:35] offset:24 th:TH_ATOMIC_RETURN scope:SCOPE_SYS
	s_wait_loadcnt 0x0
	global_inv scope:SCOPE_SYS
	v_cmp_eq_u64_e32 vcc_lo, v[38:39], v[36:37]
	s_or_b32 s51, vcc_lo, s51
	s_wait_xcnt 0x0
	s_and_not1_b32 exec_lo, exec_lo, s51
	s_cbranch_execnz .LBB5_351
; %bb.352:                              ;   in Loop: Header=BB5_299 Depth=2
	s_or_b32 exec_lo, exec_lo, s51
.LBB5_353:                              ;   in Loop: Header=BB5_299 Depth=2
	s_delay_alu instid0(SALU_CYCLE_1)
	s_or_b32 exec_lo, exec_lo, s50
.LBB5_354:                              ;   in Loop: Header=BB5_299 Depth=2
	s_delay_alu instid0(SALU_CYCLE_1)
	s_or_b32 exec_lo, exec_lo, s3
	s_clause 0x1
	global_load_b64 v[44:45], v1, s[34:35] offset:40
	global_load_b128 v[34:37], v1, s[34:35]
	v_readfirstlane_b32 s50, v38
	v_readfirstlane_b32 s51, v39
	s_mov_b32 s3, exec_lo
	s_wait_loadcnt 0x1
	v_and_b32_e32 v44, s50, v44
	v_and_b32_e32 v45, s51, v45
	s_delay_alu instid0(VALU_DEP_1) | instskip(SKIP_1) | instid1(VALU_DEP_1)
	v_mul_u64_e32 v[38:39], 24, v[44:45]
	s_wait_loadcnt 0x0
	v_add_nc_u64_e32 v[38:39], v[34:35], v[38:39]
	s_wait_xcnt 0x0
	s_and_saveexec_b32 s52, s2
	s_cbranch_execz .LBB5_356
; %bb.355:                              ;   in Loop: Header=BB5_299 Depth=2
	v_mov_b32_e32 v0, s3
	global_store_b128 v[38:39], v[0:3], off offset:8
.LBB5_356:                              ;   in Loop: Header=BB5_299 Depth=2
	s_wait_xcnt 0x0
	s_or_b32 exec_lo, exec_lo, s52
	v_cmp_lt_u64_e64 vcc_lo, s[44:45], 57
	v_lshlrev_b64_e32 v[44:45], 12, v[44:45]
	v_and_b32_e32 v5, 0xffffff1f, v18
	s_lshl_b32 s3, s48, 2
	s_delay_alu instid0(SALU_CYCLE_1) | instskip(SKIP_1) | instid1(VALU_DEP_3)
	s_add_co_i32 s3, s3, 28
	v_cndmask_b32_e32 v0, 0, v6, vcc_lo
	v_add_nc_u64_e32 v[36:37], v[36:37], v[44:45]
	s_delay_alu instid0(VALU_DEP_2) | instskip(NEXT) | instid1(VALU_DEP_2)
	v_or_b32_e32 v0, v5, v0
	v_readfirstlane_b32 s52, v36
	s_delay_alu instid0(VALU_DEP_3) | instskip(NEXT) | instid1(VALU_DEP_3)
	v_readfirstlane_b32 s53, v37
	v_and_or_b32 v18, 0x1e0, s3, v0
	s_clause 0x3
	global_store_b128 v42, v[18:21], s[52:53]
	global_store_b128 v42, v[22:25], s[52:53] offset:16
	global_store_b128 v42, v[26:29], s[52:53] offset:32
	;; [unrolled: 1-line block ×3, first 2 shown]
	s_wait_xcnt 0x0
	s_and_saveexec_b32 s3, s2
	s_cbranch_execz .LBB5_364
; %bb.357:                              ;   in Loop: Header=BB5_299 Depth=2
	s_clause 0x1
	global_load_b64 v[26:27], v1, s[34:35] offset:32 scope:SCOPE_SYS
	global_load_b64 v[18:19], v1, s[34:35] offset:40
	s_mov_b32 s52, exec_lo
	v_dual_mov_b32 v24, s50 :: v_dual_mov_b32 v25, s51
	s_wait_loadcnt 0x0
	v_and_b32_e32 v19, s51, v19
	v_and_b32_e32 v18, s50, v18
	s_delay_alu instid0(VALU_DEP_1) | instskip(NEXT) | instid1(VALU_DEP_1)
	v_mul_u64_e32 v[18:19], 24, v[18:19]
	v_add_nc_u64_e32 v[22:23], v[34:35], v[18:19]
	global_store_b64 v[22:23], v[26:27], off
	global_wb scope:SCOPE_SYS
	s_wait_storecnt 0x0
	s_wait_xcnt 0x0
	global_atomic_cmpswap_b64 v[20:21], v1, v[24:27], s[34:35] offset:32 th:TH_ATOMIC_RETURN scope:SCOPE_SYS
	s_wait_loadcnt 0x0
	v_cmpx_ne_u64_e64 v[20:21], v[26:27]
	s_cbranch_execz .LBB5_360
; %bb.358:                              ;   in Loop: Header=BB5_299 Depth=2
	s_mov_b32 s53, 0
.LBB5_359:                              ;   Parent Loop BB5_270 Depth=1
                                        ;     Parent Loop BB5_299 Depth=2
                                        ; =>    This Inner Loop Header: Depth=3
	v_dual_mov_b32 v18, s50 :: v_dual_mov_b32 v19, s51
	s_sleep 1
	global_store_b64 v[22:23], v[20:21], off
	global_wb scope:SCOPE_SYS
	s_wait_storecnt 0x0
	s_wait_xcnt 0x0
	global_atomic_cmpswap_b64 v[18:19], v1, v[18:21], s[34:35] offset:32 th:TH_ATOMIC_RETURN scope:SCOPE_SYS
	s_wait_loadcnt 0x0
	v_cmp_eq_u64_e32 vcc_lo, v[18:19], v[20:21]
	v_mov_b64_e32 v[20:21], v[18:19]
	s_or_b32 s53, vcc_lo, s53
	s_delay_alu instid0(SALU_CYCLE_1)
	s_and_not1_b32 exec_lo, exec_lo, s53
	s_cbranch_execnz .LBB5_359
.LBB5_360:                              ;   in Loop: Header=BB5_299 Depth=2
	s_or_b32 exec_lo, exec_lo, s52
	global_load_b64 v[18:19], v1, s[34:35] offset:16
	s_mov_b32 s53, exec_lo
	s_mov_b32 s52, exec_lo
	v_mbcnt_lo_u32_b32 v0, s53, 0
	s_wait_xcnt 0x0
	s_delay_alu instid0(VALU_DEP_1)
	v_cmpx_eq_u32_e32 0, v0
	s_cbranch_execz .LBB5_362
; %bb.361:                              ;   in Loop: Header=BB5_299 Depth=2
	s_bcnt1_i32_b32 s53, s53
	s_delay_alu instid0(SALU_CYCLE_1)
	v_mov_b32_e32 v0, s53
	global_wb scope:SCOPE_SYS
	s_wait_loadcnt 0x0
	s_wait_storecnt 0x0
	global_atomic_add_u64 v[18:19], v[0:1], off offset:8 scope:SCOPE_SYS
.LBB5_362:                              ;   in Loop: Header=BB5_299 Depth=2
	s_wait_xcnt 0x0
	s_or_b32 exec_lo, exec_lo, s52
	s_wait_loadcnt 0x0
	global_load_b64 v[20:21], v[18:19], off offset:16
	s_wait_loadcnt 0x0
	v_cmp_eq_u64_e32 vcc_lo, 0, v[20:21]
	s_cbranch_vccnz .LBB5_364
; %bb.363:                              ;   in Loop: Header=BB5_299 Depth=2
	global_load_b32 v0, v[18:19], off offset:24
	s_wait_loadcnt 0x0
	v_readfirstlane_b32 s52, v0
	global_wb scope:SCOPE_SYS
	s_wait_storecnt 0x0
	s_wait_xcnt 0x0
	global_store_b64 v[20:21], v[0:1], off scope:SCOPE_SYS
	s_and_b32 m0, s52, 0xffffff
	s_sendmsg sendmsg(MSG_INTERRUPT)
.LBB5_364:                              ;   in Loop: Header=BB5_299 Depth=2
	s_wait_xcnt 0x0
	s_or_b32 exec_lo, exec_lo, s3
	v_mov_b32_e32 v43, v1
	s_delay_alu instid0(VALU_DEP_1)
	v_add_nc_u64_e32 v[18:19], v[36:37], v[42:43]
	s_branch .LBB5_368
.LBB5_365:                              ;   in Loop: Header=BB5_368 Depth=3
	s_wait_xcnt 0x0
	s_or_b32 exec_lo, exec_lo, s3
	s_delay_alu instid0(VALU_DEP_1)
	v_readfirstlane_b32 s3, v0
	s_cmp_eq_u32 s3, 0
	s_cbranch_scc1 .LBB5_367
; %bb.366:                              ;   in Loop: Header=BB5_368 Depth=3
	s_sleep 1
	s_cbranch_execnz .LBB5_368
	s_branch .LBB5_370
.LBB5_367:                              ;   in Loop: Header=BB5_299 Depth=2
	s_branch .LBB5_370
.LBB5_368:                              ;   Parent Loop BB5_270 Depth=1
                                        ;     Parent Loop BB5_299 Depth=2
                                        ; =>    This Inner Loop Header: Depth=3
	v_mov_b32_e32 v0, 1
	s_and_saveexec_b32 s3, s2
	s_cbranch_execz .LBB5_365
; %bb.369:                              ;   in Loop: Header=BB5_368 Depth=3
	global_load_b32 v0, v[38:39], off offset:20 scope:SCOPE_SYS
	s_wait_loadcnt 0x0
	global_inv scope:SCOPE_SYS
	v_and_b32_e32 v0, 1, v0
	s_branch .LBB5_365
.LBB5_370:                              ;   in Loop: Header=BB5_299 Depth=2
	global_load_b64 v[18:19], v[18:19], off
	s_wait_xcnt 0x0
	s_and_saveexec_b32 s52, s2
	s_cbranch_execz .LBB5_298
; %bb.371:                              ;   in Loop: Header=BB5_299 Depth=2
	s_clause 0x2
	global_load_b64 v[20:21], v1, s[34:35] offset:40
	global_load_b64 v[28:29], v1, s[34:35] offset:24 scope:SCOPE_SYS
	global_load_b64 v[22:23], v1, s[34:35]
	s_wait_loadcnt 0x2
	v_readfirstlane_b32 s54, v20
	v_readfirstlane_b32 s55, v21
	s_add_nc_u64 s[2:3], s[54:55], 1
	s_delay_alu instid0(SALU_CYCLE_1) | instskip(NEXT) | instid1(SALU_CYCLE_1)
	s_add_nc_u64 s[50:51], s[2:3], s[50:51]
	s_cmp_eq_u64 s[50:51], 0
	s_cselect_b32 s3, s3, s51
	s_cselect_b32 s2, s2, s50
	s_delay_alu instid0(SALU_CYCLE_1) | instskip(SKIP_1) | instid1(SALU_CYCLE_1)
	v_dual_mov_b32 v27, s3 :: v_dual_mov_b32 v26, s2
	s_and_b64 s[50:51], s[2:3], s[54:55]
	s_mul_u64 s[50:51], s[50:51], 24
	s_wait_loadcnt 0x0
	v_add_nc_u64_e32 v[24:25], s[50:51], v[22:23]
	global_store_b64 v[24:25], v[28:29], off
	global_wb scope:SCOPE_SYS
	s_wait_storecnt 0x0
	s_wait_xcnt 0x0
	global_atomic_cmpswap_b64 v[22:23], v1, v[26:29], s[34:35] offset:24 th:TH_ATOMIC_RETURN scope:SCOPE_SYS
	s_wait_loadcnt 0x0
	v_cmp_ne_u64_e32 vcc_lo, v[22:23], v[28:29]
	s_and_b32 exec_lo, exec_lo, vcc_lo
	s_cbranch_execz .LBB5_298
; %bb.372:                              ;   in Loop: Header=BB5_299 Depth=2
	s_mov_b32 s50, 0
.LBB5_373:                              ;   Parent Loop BB5_270 Depth=1
                                        ;     Parent Loop BB5_299 Depth=2
                                        ; =>    This Inner Loop Header: Depth=3
	v_dual_mov_b32 v20, s2 :: v_dual_mov_b32 v21, s3
	s_sleep 1
	global_store_b64 v[24:25], v[22:23], off
	global_wb scope:SCOPE_SYS
	s_wait_storecnt 0x0
	s_wait_xcnt 0x0
	global_atomic_cmpswap_b64 v[20:21], v1, v[20:23], s[34:35] offset:24 th:TH_ATOMIC_RETURN scope:SCOPE_SYS
	s_wait_loadcnt 0x0
	v_cmp_eq_u64_e32 vcc_lo, v[20:21], v[22:23]
	v_mov_b64_e32 v[22:23], v[20:21]
	s_or_b32 s50, vcc_lo, s50
	s_delay_alu instid0(SALU_CYCLE_1)
	s_and_not1_b32 exec_lo, exec_lo, s50
	s_cbranch_execnz .LBB5_373
	s_branch .LBB5_298
.LBB5_374:                              ;   in Loop: Header=BB5_270 Depth=1
	s_branch .LBB5_403
.LBB5_375:                              ;   in Loop: Header=BB5_270 Depth=1
                                        ; implicit-def: $vgpr18_vgpr19
	s_cbranch_execz .LBB5_403
; %bb.376:                              ;   in Loop: Header=BB5_270 Depth=1
	v_readfirstlane_b32 s2, v56
	v_mov_b64_e32 v[6:7], 0
	s_delay_alu instid0(VALU_DEP_2)
	v_cmp_eq_u32_e64 s2, s2, v56
	s_and_saveexec_b32 s3, s2
	s_cbranch_execz .LBB5_382
; %bb.377:                              ;   in Loop: Header=BB5_270 Depth=1
	global_load_b64 v[20:21], v1, s[34:35] offset:24 scope:SCOPE_SYS
	s_wait_loadcnt 0x0
	global_inv scope:SCOPE_SYS
	s_clause 0x1
	global_load_b64 v[6:7], v1, s[34:35] offset:40
	global_load_b64 v[18:19], v1, s[34:35]
	s_mov_b32 s44, exec_lo
	s_wait_loadcnt 0x1
	v_and_b32_e32 v6, v6, v20
	v_and_b32_e32 v7, v7, v21
	s_delay_alu instid0(VALU_DEP_1) | instskip(SKIP_1) | instid1(VALU_DEP_1)
	v_mul_u64_e32 v[6:7], 24, v[6:7]
	s_wait_loadcnt 0x0
	v_add_nc_u64_e32 v[6:7], v[18:19], v[6:7]
	global_load_b64 v[18:19], v[6:7], off scope:SCOPE_SYS
	s_wait_xcnt 0x0
	s_wait_loadcnt 0x0
	global_atomic_cmpswap_b64 v[6:7], v1, v[18:21], s[34:35] offset:24 th:TH_ATOMIC_RETURN scope:SCOPE_SYS
	s_wait_loadcnt 0x0
	global_inv scope:SCOPE_SYS
	s_wait_xcnt 0x0
	v_cmpx_ne_u64_e64 v[6:7], v[20:21]
	s_cbranch_execz .LBB5_381
; %bb.378:                              ;   in Loop: Header=BB5_270 Depth=1
	s_mov_b32 s45, 0
.LBB5_379:                              ;   Parent Loop BB5_270 Depth=1
                                        ; =>  This Inner Loop Header: Depth=2
	s_sleep 1
	s_clause 0x1
	global_load_b64 v[18:19], v1, s[34:35] offset:40
	global_load_b64 v[22:23], v1, s[34:35]
	v_mov_b64_e32 v[20:21], v[6:7]
	s_wait_loadcnt 0x1
	s_delay_alu instid0(VALU_DEP_1) | instskip(SKIP_1) | instid1(VALU_DEP_1)
	v_and_b32_e32 v0, v18, v20
	s_wait_loadcnt 0x0
	v_mad_nc_u64_u32 v[6:7], v0, 24, v[22:23]
	s_delay_alu instid0(VALU_DEP_3) | instskip(NEXT) | instid1(VALU_DEP_1)
	v_and_b32_e32 v0, v19, v21
	v_mad_u32 v7, v0, 24, v7
	global_load_b64 v[18:19], v[6:7], off scope:SCOPE_SYS
	s_wait_xcnt 0x0
	s_wait_loadcnt 0x0
	global_atomic_cmpswap_b64 v[6:7], v1, v[18:21], s[34:35] offset:24 th:TH_ATOMIC_RETURN scope:SCOPE_SYS
	s_wait_loadcnt 0x0
	global_inv scope:SCOPE_SYS
	v_cmp_eq_u64_e32 vcc_lo, v[6:7], v[20:21]
	s_or_b32 s45, vcc_lo, s45
	s_wait_xcnt 0x0
	s_and_not1_b32 exec_lo, exec_lo, s45
	s_cbranch_execnz .LBB5_379
; %bb.380:                              ;   in Loop: Header=BB5_270 Depth=1
	s_or_b32 exec_lo, exec_lo, s45
.LBB5_381:                              ;   in Loop: Header=BB5_270 Depth=1
	s_delay_alu instid0(SALU_CYCLE_1)
	s_or_b32 exec_lo, exec_lo, s44
.LBB5_382:                              ;   in Loop: Header=BB5_270 Depth=1
	s_delay_alu instid0(SALU_CYCLE_1)
	s_or_b32 exec_lo, exec_lo, s3
	s_wait_loadcnt 0x0
	s_clause 0x1
	global_load_b64 v[18:19], v1, s[34:35] offset:40
	global_load_b128 v[20:23], v1, s[34:35]
	v_readfirstlane_b32 s44, v6
	v_readfirstlane_b32 s45, v7
	s_mov_b32 s3, exec_lo
	s_wait_loadcnt 0x1
	v_and_b32_e32 v18, s44, v18
	v_and_b32_e32 v19, s45, v19
	s_delay_alu instid0(VALU_DEP_1) | instskip(SKIP_1) | instid1(VALU_DEP_1)
	v_mul_u64_e32 v[6:7], 24, v[18:19]
	s_wait_loadcnt 0x0
	v_add_nc_u64_e32 v[6:7], v[20:21], v[6:7]
	s_wait_xcnt 0x0
	s_and_saveexec_b32 s46, s2
	s_cbranch_execz .LBB5_384
; %bb.383:                              ;   in Loop: Header=BB5_270 Depth=1
	v_mov_b32_e32 v0, s3
	global_store_b128 v[6:7], v[0:3], off offset:8
.LBB5_384:                              ;   in Loop: Header=BB5_270 Depth=1
	s_wait_xcnt 0x0
	s_or_b32 exec_lo, exec_lo, s46
	v_lshlrev_b64_e32 v[18:19], 12, v[18:19]
	v_mov_b64_e32 v[26:27], s[6:7]
	v_mov_b64_e32 v[24:25], s[4:5]
	v_and_or_b32 v16, 0xffffff1f, v16, 32
	s_delay_alu instid0(VALU_DEP_4) | instskip(SKIP_1) | instid1(VALU_DEP_2)
	v_add_nc_u64_e32 v[22:23], v[22:23], v[18:19]
	v_dual_mov_b32 v18, v1 :: v_dual_mov_b32 v19, v1
	v_readfirstlane_b32 s46, v22
	s_delay_alu instid0(VALU_DEP_3)
	v_readfirstlane_b32 s47, v23
	s_clause 0x3
	global_store_b128 v42, v[16:19], s[46:47]
	global_store_b128 v42, v[24:27], s[46:47] offset:16
	global_store_b128 v42, v[24:27], s[46:47] offset:32
	;; [unrolled: 1-line block ×3, first 2 shown]
	s_wait_xcnt 0x0
	s_and_saveexec_b32 s3, s2
	s_cbranch_execz .LBB5_392
; %bb.385:                              ;   in Loop: Header=BB5_270 Depth=1
	s_clause 0x1
	global_load_b64 v[26:27], v1, s[34:35] offset:32 scope:SCOPE_SYS
	global_load_b64 v[16:17], v1, s[34:35] offset:40
	s_mov_b32 s46, exec_lo
	v_dual_mov_b32 v24, s44 :: v_dual_mov_b32 v25, s45
	s_wait_loadcnt 0x0
	v_and_b32_e32 v17, s45, v17
	v_and_b32_e32 v16, s44, v16
	s_delay_alu instid0(VALU_DEP_1) | instskip(NEXT) | instid1(VALU_DEP_1)
	v_mul_u64_e32 v[16:17], 24, v[16:17]
	v_add_nc_u64_e32 v[20:21], v[20:21], v[16:17]
	global_store_b64 v[20:21], v[26:27], off
	global_wb scope:SCOPE_SYS
	s_wait_storecnt 0x0
	s_wait_xcnt 0x0
	global_atomic_cmpswap_b64 v[18:19], v1, v[24:27], s[34:35] offset:32 th:TH_ATOMIC_RETURN scope:SCOPE_SYS
	s_wait_loadcnt 0x0
	v_cmpx_ne_u64_e64 v[18:19], v[26:27]
	s_cbranch_execz .LBB5_388
; %bb.386:                              ;   in Loop: Header=BB5_270 Depth=1
	s_mov_b32 s47, 0
.LBB5_387:                              ;   Parent Loop BB5_270 Depth=1
                                        ; =>  This Inner Loop Header: Depth=2
	v_dual_mov_b32 v16, s44 :: v_dual_mov_b32 v17, s45
	s_sleep 1
	global_store_b64 v[20:21], v[18:19], off
	global_wb scope:SCOPE_SYS
	s_wait_storecnt 0x0
	s_wait_xcnt 0x0
	global_atomic_cmpswap_b64 v[16:17], v1, v[16:19], s[34:35] offset:32 th:TH_ATOMIC_RETURN scope:SCOPE_SYS
	s_wait_loadcnt 0x0
	v_cmp_eq_u64_e32 vcc_lo, v[16:17], v[18:19]
	v_mov_b64_e32 v[18:19], v[16:17]
	s_or_b32 s47, vcc_lo, s47
	s_delay_alu instid0(SALU_CYCLE_1)
	s_and_not1_b32 exec_lo, exec_lo, s47
	s_cbranch_execnz .LBB5_387
.LBB5_388:                              ;   in Loop: Header=BB5_270 Depth=1
	s_or_b32 exec_lo, exec_lo, s46
	global_load_b64 v[16:17], v1, s[34:35] offset:16
	s_mov_b32 s47, exec_lo
	s_mov_b32 s46, exec_lo
	v_mbcnt_lo_u32_b32 v0, s47, 0
	s_wait_xcnt 0x0
	s_delay_alu instid0(VALU_DEP_1)
	v_cmpx_eq_u32_e32 0, v0
	s_cbranch_execz .LBB5_390
; %bb.389:                              ;   in Loop: Header=BB5_270 Depth=1
	s_bcnt1_i32_b32 s47, s47
	s_delay_alu instid0(SALU_CYCLE_1)
	v_mov_b32_e32 v0, s47
	global_wb scope:SCOPE_SYS
	s_wait_loadcnt 0x0
	s_wait_storecnt 0x0
	global_atomic_add_u64 v[16:17], v[0:1], off offset:8 scope:SCOPE_SYS
.LBB5_390:                              ;   in Loop: Header=BB5_270 Depth=1
	s_wait_xcnt 0x0
	s_or_b32 exec_lo, exec_lo, s46
	s_wait_loadcnt 0x0
	global_load_b64 v[18:19], v[16:17], off offset:16
	s_wait_loadcnt 0x0
	v_cmp_eq_u64_e32 vcc_lo, 0, v[18:19]
	s_cbranch_vccnz .LBB5_392
; %bb.391:                              ;   in Loop: Header=BB5_270 Depth=1
	global_load_b32 v0, v[16:17], off offset:24
	s_wait_loadcnt 0x0
	v_readfirstlane_b32 s46, v0
	global_wb scope:SCOPE_SYS
	s_wait_storecnt 0x0
	s_wait_xcnt 0x0
	global_store_b64 v[18:19], v[0:1], off scope:SCOPE_SYS
	s_and_b32 m0, s46, 0xffffff
	s_sendmsg sendmsg(MSG_INTERRUPT)
.LBB5_392:                              ;   in Loop: Header=BB5_270 Depth=1
	s_wait_xcnt 0x0
	s_or_b32 exec_lo, exec_lo, s3
	v_mov_b32_e32 v43, v1
	s_delay_alu instid0(VALU_DEP_1)
	v_add_nc_u64_e32 v[16:17], v[22:23], v[42:43]
	s_branch .LBB5_396
.LBB5_393:                              ;   in Loop: Header=BB5_396 Depth=2
	s_wait_xcnt 0x0
	s_or_b32 exec_lo, exec_lo, s3
	s_delay_alu instid0(VALU_DEP_1)
	v_readfirstlane_b32 s3, v0
	s_cmp_eq_u32 s3, 0
	s_cbranch_scc1 .LBB5_395
; %bb.394:                              ;   in Loop: Header=BB5_396 Depth=2
	s_sleep 1
	s_cbranch_execnz .LBB5_396
	s_branch .LBB5_398
.LBB5_395:                              ;   in Loop: Header=BB5_270 Depth=1
	s_branch .LBB5_398
.LBB5_396:                              ;   Parent Loop BB5_270 Depth=1
                                        ; =>  This Inner Loop Header: Depth=2
	v_mov_b32_e32 v0, 1
	s_and_saveexec_b32 s3, s2
	s_cbranch_execz .LBB5_393
; %bb.397:                              ;   in Loop: Header=BB5_396 Depth=2
	global_load_b32 v0, v[6:7], off offset:20 scope:SCOPE_SYS
	s_wait_loadcnt 0x0
	global_inv scope:SCOPE_SYS
	v_and_b32_e32 v0, 1, v0
	s_branch .LBB5_393
.LBB5_398:                              ;   in Loop: Header=BB5_270 Depth=1
	global_load_b64 v[18:19], v[16:17], off
	s_wait_xcnt 0x0
	s_and_saveexec_b32 s46, s2
	s_cbranch_execz .LBB5_402
; %bb.399:                              ;   in Loop: Header=BB5_270 Depth=1
	s_clause 0x2
	global_load_b64 v[6:7], v1, s[34:35] offset:40
	global_load_b64 v[24:25], v1, s[34:35] offset:24 scope:SCOPE_SYS
	global_load_b64 v[16:17], v1, s[34:35]
	s_wait_loadcnt 0x2
	v_readfirstlane_b32 s48, v6
	v_readfirstlane_b32 s49, v7
	s_add_nc_u64 s[2:3], s[48:49], 1
	s_delay_alu instid0(SALU_CYCLE_1) | instskip(NEXT) | instid1(SALU_CYCLE_1)
	s_add_nc_u64 s[44:45], s[2:3], s[44:45]
	s_cmp_eq_u64 s[44:45], 0
	s_cselect_b32 s3, s3, s45
	s_cselect_b32 s2, s2, s44
	s_delay_alu instid0(SALU_CYCLE_1) | instskip(SKIP_1) | instid1(SALU_CYCLE_1)
	v_dual_mov_b32 v23, s3 :: v_dual_mov_b32 v22, s2
	s_and_b64 s[44:45], s[2:3], s[48:49]
	s_mul_u64 s[44:45], s[44:45], 24
	s_wait_loadcnt 0x0
	v_add_nc_u64_e32 v[6:7], s[44:45], v[16:17]
	global_store_b64 v[6:7], v[24:25], off
	global_wb scope:SCOPE_SYS
	s_wait_storecnt 0x0
	s_wait_xcnt 0x0
	global_atomic_cmpswap_b64 v[22:23], v1, v[22:25], s[34:35] offset:24 th:TH_ATOMIC_RETURN scope:SCOPE_SYS
	s_wait_loadcnt 0x0
	v_cmp_ne_u64_e32 vcc_lo, v[22:23], v[24:25]
	s_and_b32 exec_lo, exec_lo, vcc_lo
	s_cbranch_execz .LBB5_402
; %bb.400:                              ;   in Loop: Header=BB5_270 Depth=1
	s_mov_b32 s44, 0
.LBB5_401:                              ;   Parent Loop BB5_270 Depth=1
                                        ; =>  This Inner Loop Header: Depth=2
	v_dual_mov_b32 v20, s2 :: v_dual_mov_b32 v21, s3
	s_sleep 1
	global_store_b64 v[6:7], v[22:23], off
	global_wb scope:SCOPE_SYS
	s_wait_storecnt 0x0
	s_wait_xcnt 0x0
	global_atomic_cmpswap_b64 v[16:17], v1, v[20:23], s[34:35] offset:24 th:TH_ATOMIC_RETURN scope:SCOPE_SYS
	s_wait_loadcnt 0x0
	v_cmp_eq_u64_e32 vcc_lo, v[16:17], v[22:23]
	v_mov_b64_e32 v[22:23], v[16:17]
	s_or_b32 s44, vcc_lo, s44
	s_delay_alu instid0(SALU_CYCLE_1)
	s_and_not1_b32 exec_lo, exec_lo, s44
	s_cbranch_execnz .LBB5_401
.LBB5_402:                              ;   in Loop: Header=BB5_270 Depth=1
	s_or_b32 exec_lo, exec_lo, s46
.LBB5_403:                              ;   in Loop: Header=BB5_270 Depth=1
	v_readfirstlane_b32 s2, v56
	v_mov_b64_e32 v[6:7], 0
	s_delay_alu instid0(VALU_DEP_2)
	v_cmp_eq_u32_e64 s2, s2, v56
	s_and_saveexec_b32 s3, s2
	s_cbranch_execz .LBB5_409
; %bb.404:                              ;   in Loop: Header=BB5_270 Depth=1
	global_load_b64 v[22:23], v1, s[34:35] offset:24 scope:SCOPE_SYS
	s_wait_loadcnt 0x0
	global_inv scope:SCOPE_SYS
	s_clause 0x1
	global_load_b64 v[6:7], v1, s[34:35] offset:40
	global_load_b64 v[16:17], v1, s[34:35]
	s_mov_b32 s44, exec_lo
	s_wait_loadcnt 0x1
	v_and_b32_e32 v6, v6, v22
	v_and_b32_e32 v7, v7, v23
	s_delay_alu instid0(VALU_DEP_1) | instskip(SKIP_1) | instid1(VALU_DEP_1)
	v_mul_u64_e32 v[6:7], 24, v[6:7]
	s_wait_loadcnt 0x0
	v_add_nc_u64_e32 v[6:7], v[16:17], v[6:7]
	global_load_b64 v[20:21], v[6:7], off scope:SCOPE_SYS
	s_wait_xcnt 0x0
	s_wait_loadcnt 0x0
	global_atomic_cmpswap_b64 v[6:7], v1, v[20:23], s[34:35] offset:24 th:TH_ATOMIC_RETURN scope:SCOPE_SYS
	s_wait_loadcnt 0x0
	global_inv scope:SCOPE_SYS
	s_wait_xcnt 0x0
	v_cmpx_ne_u64_e64 v[6:7], v[22:23]
	s_cbranch_execz .LBB5_408
; %bb.405:                              ;   in Loop: Header=BB5_270 Depth=1
	s_mov_b32 s45, 0
.LBB5_406:                              ;   Parent Loop BB5_270 Depth=1
                                        ; =>  This Inner Loop Header: Depth=2
	s_sleep 1
	s_clause 0x1
	global_load_b64 v[16:17], v1, s[34:35] offset:40
	global_load_b64 v[20:21], v1, s[34:35]
	v_mov_b64_e32 v[22:23], v[6:7]
	s_wait_loadcnt 0x1
	s_delay_alu instid0(VALU_DEP_1) | instskip(SKIP_1) | instid1(VALU_DEP_1)
	v_and_b32_e32 v0, v16, v22
	s_wait_loadcnt 0x0
	v_mad_nc_u64_u32 v[6:7], v0, 24, v[20:21]
	s_delay_alu instid0(VALU_DEP_3) | instskip(NEXT) | instid1(VALU_DEP_1)
	v_and_b32_e32 v0, v17, v23
	v_mad_u32 v7, v0, 24, v7
	global_load_b64 v[20:21], v[6:7], off scope:SCOPE_SYS
	s_wait_xcnt 0x0
	s_wait_loadcnt 0x0
	global_atomic_cmpswap_b64 v[6:7], v1, v[20:23], s[34:35] offset:24 th:TH_ATOMIC_RETURN scope:SCOPE_SYS
	s_wait_loadcnt 0x0
	global_inv scope:SCOPE_SYS
	v_cmp_eq_u64_e32 vcc_lo, v[6:7], v[22:23]
	s_or_b32 s45, vcc_lo, s45
	s_wait_xcnt 0x0
	s_and_not1_b32 exec_lo, exec_lo, s45
	s_cbranch_execnz .LBB5_406
; %bb.407:                              ;   in Loop: Header=BB5_270 Depth=1
	s_or_b32 exec_lo, exec_lo, s45
.LBB5_408:                              ;   in Loop: Header=BB5_270 Depth=1
	s_delay_alu instid0(SALU_CYCLE_1)
	s_or_b32 exec_lo, exec_lo, s44
.LBB5_409:                              ;   in Loop: Header=BB5_270 Depth=1
	s_delay_alu instid0(SALU_CYCLE_1)
	s_or_b32 exec_lo, exec_lo, s3
	s_wait_loadcnt 0x0
	s_clause 0x1
	global_load_b64 v[16:17], v1, s[34:35] offset:40
	global_load_b128 v[22:25], v1, s[34:35]
	v_readfirstlane_b32 s44, v6
	v_readfirstlane_b32 s45, v7
	s_mov_b32 s3, exec_lo
	s_wait_loadcnt 0x1
	v_and_b32_e32 v16, s44, v16
	v_and_b32_e32 v17, s45, v17
	s_delay_alu instid0(VALU_DEP_1) | instskip(SKIP_1) | instid1(VALU_DEP_1)
	v_mul_u64_e32 v[6:7], 24, v[16:17]
	s_wait_loadcnt 0x0
	v_add_nc_u64_e32 v[6:7], v[22:23], v[6:7]
	s_wait_xcnt 0x0
	s_and_saveexec_b32 s46, s2
	s_cbranch_execz .LBB5_411
; %bb.410:                              ;   in Loop: Header=BB5_270 Depth=1
	v_mov_b32_e32 v0, s3
	global_store_b128 v[6:7], v[0:3], off offset:8
.LBB5_411:                              ;   in Loop: Header=BB5_270 Depth=1
	s_wait_xcnt 0x0
	s_or_b32 exec_lo, exec_lo, s46
	v_lshlrev_b64_e32 v[16:17], 12, v[16:17]
	v_and_or_b32 v18, 0xffffff1d, v18, 34
	v_dual_mov_b32 v20, s42 :: v_dual_mov_b32 v21, v1
	s_delay_alu instid0(VALU_DEP_3) | instskip(SKIP_2) | instid1(VALU_DEP_3)
	v_add_nc_u64_e32 v[16:17], v[24:25], v[16:17]
	v_mov_b64_e32 v[26:27], s[6:7]
	v_mov_b64_e32 v[24:25], s[4:5]
	v_readfirstlane_b32 s46, v16
	s_delay_alu instid0(VALU_DEP_4)
	v_readfirstlane_b32 s47, v17
	s_clause 0x3
	global_store_b128 v42, v[18:21], s[46:47]
	global_store_b128 v42, v[24:27], s[46:47] offset:16
	global_store_b128 v42, v[24:27], s[46:47] offset:32
	;; [unrolled: 1-line block ×3, first 2 shown]
	s_wait_xcnt 0x0
	s_and_saveexec_b32 s3, s2
	s_cbranch_execz .LBB5_419
; %bb.412:                              ;   in Loop: Header=BB5_270 Depth=1
	s_clause 0x1
	global_load_b64 v[24:25], v1, s[34:35] offset:32 scope:SCOPE_SYS
	global_load_b64 v[16:17], v1, s[34:35] offset:40
	s_mov_b32 s46, exec_lo
	s_wait_loadcnt 0x0
	v_and_b32_e32 v16, s44, v16
	v_and_b32_e32 v17, s45, v17
	s_delay_alu instid0(VALU_DEP_1) | instskip(NEXT) | instid1(VALU_DEP_1)
	v_mul_u64_e32 v[16:17], 24, v[16:17]
	v_add_nc_u64_e32 v[20:21], v[22:23], v[16:17]
	v_dual_mov_b32 v22, s44 :: v_dual_mov_b32 v23, s45
	global_store_b64 v[20:21], v[24:25], off
	global_wb scope:SCOPE_SYS
	s_wait_storecnt 0x0
	s_wait_xcnt 0x0
	global_atomic_cmpswap_b64 v[18:19], v1, v[22:25], s[34:35] offset:32 th:TH_ATOMIC_RETURN scope:SCOPE_SYS
	s_wait_loadcnt 0x0
	v_cmpx_ne_u64_e64 v[18:19], v[24:25]
	s_cbranch_execz .LBB5_415
; %bb.413:                              ;   in Loop: Header=BB5_270 Depth=1
	s_mov_b32 s47, 0
.LBB5_414:                              ;   Parent Loop BB5_270 Depth=1
                                        ; =>  This Inner Loop Header: Depth=2
	v_dual_mov_b32 v16, s44 :: v_dual_mov_b32 v17, s45
	s_sleep 1
	global_store_b64 v[20:21], v[18:19], off
	global_wb scope:SCOPE_SYS
	s_wait_storecnt 0x0
	s_wait_xcnt 0x0
	global_atomic_cmpswap_b64 v[16:17], v1, v[16:19], s[34:35] offset:32 th:TH_ATOMIC_RETURN scope:SCOPE_SYS
	s_wait_loadcnt 0x0
	v_cmp_eq_u64_e32 vcc_lo, v[16:17], v[18:19]
	v_mov_b64_e32 v[18:19], v[16:17]
	s_or_b32 s47, vcc_lo, s47
	s_delay_alu instid0(SALU_CYCLE_1)
	s_and_not1_b32 exec_lo, exec_lo, s47
	s_cbranch_execnz .LBB5_414
.LBB5_415:                              ;   in Loop: Header=BB5_270 Depth=1
	s_or_b32 exec_lo, exec_lo, s46
	global_load_b64 v[16:17], v1, s[34:35] offset:16
	s_mov_b32 s47, exec_lo
	s_mov_b32 s46, exec_lo
	v_mbcnt_lo_u32_b32 v0, s47, 0
	s_wait_xcnt 0x0
	s_delay_alu instid0(VALU_DEP_1)
	v_cmpx_eq_u32_e32 0, v0
	s_cbranch_execz .LBB5_417
; %bb.416:                              ;   in Loop: Header=BB5_270 Depth=1
	s_bcnt1_i32_b32 s47, s47
	s_delay_alu instid0(SALU_CYCLE_1)
	v_mov_b32_e32 v0, s47
	global_wb scope:SCOPE_SYS
	s_wait_loadcnt 0x0
	s_wait_storecnt 0x0
	global_atomic_add_u64 v[16:17], v[0:1], off offset:8 scope:SCOPE_SYS
.LBB5_417:                              ;   in Loop: Header=BB5_270 Depth=1
	s_wait_xcnt 0x0
	s_or_b32 exec_lo, exec_lo, s46
	s_wait_loadcnt 0x0
	global_load_b64 v[18:19], v[16:17], off offset:16
	s_wait_loadcnt 0x0
	v_cmp_eq_u64_e32 vcc_lo, 0, v[18:19]
	s_cbranch_vccnz .LBB5_419
; %bb.418:                              ;   in Loop: Header=BB5_270 Depth=1
	global_load_b32 v0, v[16:17], off offset:24
	s_wait_loadcnt 0x0
	v_readfirstlane_b32 s46, v0
	global_wb scope:SCOPE_SYS
	s_wait_storecnt 0x0
	s_wait_xcnt 0x0
	global_store_b64 v[18:19], v[0:1], off scope:SCOPE_SYS
	s_and_b32 m0, s46, 0xffffff
	s_sendmsg sendmsg(MSG_INTERRUPT)
.LBB5_419:                              ;   in Loop: Header=BB5_270 Depth=1
	s_wait_xcnt 0x0
	s_or_b32 exec_lo, exec_lo, s3
	s_branch .LBB5_423
.LBB5_420:                              ;   in Loop: Header=BB5_423 Depth=2
	s_wait_xcnt 0x0
	s_or_b32 exec_lo, exec_lo, s3
	s_delay_alu instid0(VALU_DEP_1)
	v_readfirstlane_b32 s3, v0
	s_cmp_eq_u32 s3, 0
	s_cbranch_scc1 .LBB5_422
; %bb.421:                              ;   in Loop: Header=BB5_423 Depth=2
	s_sleep 1
	s_cbranch_execnz .LBB5_423
	s_branch .LBB5_425
.LBB5_422:                              ;   in Loop: Header=BB5_270 Depth=1
	s_branch .LBB5_425
.LBB5_423:                              ;   Parent Loop BB5_270 Depth=1
                                        ; =>  This Inner Loop Header: Depth=2
	v_mov_b32_e32 v0, 1
	s_and_saveexec_b32 s3, s2
	s_cbranch_execz .LBB5_420
; %bb.424:                              ;   in Loop: Header=BB5_423 Depth=2
	global_load_b32 v0, v[6:7], off offset:20 scope:SCOPE_SYS
	s_wait_loadcnt 0x0
	global_inv scope:SCOPE_SYS
	v_and_b32_e32 v0, 1, v0
	s_branch .LBB5_420
.LBB5_425:                              ;   in Loop: Header=BB5_270 Depth=1
	s_and_saveexec_b32 s46, s2
	s_cbranch_execz .LBB5_429
; %bb.426:                              ;   in Loop: Header=BB5_270 Depth=1
	s_clause 0x2
	global_load_b64 v[6:7], v1, s[34:35] offset:40
	global_load_b64 v[20:21], v1, s[34:35] offset:24 scope:SCOPE_SYS
	global_load_b64 v[16:17], v1, s[34:35]
	s_wait_loadcnt 0x2
	v_readfirstlane_b32 s48, v6
	v_readfirstlane_b32 s49, v7
	s_add_nc_u64 s[2:3], s[48:49], 1
	s_delay_alu instid0(SALU_CYCLE_1) | instskip(NEXT) | instid1(SALU_CYCLE_1)
	s_add_nc_u64 s[44:45], s[2:3], s[44:45]
	s_cmp_eq_u64 s[44:45], 0
	s_cselect_b32 s3, s3, s45
	s_cselect_b32 s2, s2, s44
	s_delay_alu instid0(SALU_CYCLE_1) | instskip(SKIP_1) | instid1(SALU_CYCLE_1)
	v_dual_mov_b32 v19, s3 :: v_dual_mov_b32 v18, s2
	s_and_b64 s[44:45], s[2:3], s[48:49]
	s_mul_u64 s[44:45], s[44:45], 24
	s_wait_loadcnt 0x0
	v_add_nc_u64_e32 v[6:7], s[44:45], v[16:17]
	global_store_b64 v[6:7], v[20:21], off
	global_wb scope:SCOPE_SYS
	s_wait_storecnt 0x0
	s_wait_xcnt 0x0
	global_atomic_cmpswap_b64 v[18:19], v1, v[18:21], s[34:35] offset:24 th:TH_ATOMIC_RETURN scope:SCOPE_SYS
	s_wait_loadcnt 0x0
	v_cmp_ne_u64_e32 vcc_lo, v[18:19], v[20:21]
	s_and_b32 exec_lo, exec_lo, vcc_lo
	s_cbranch_execz .LBB5_429
; %bb.427:                              ;   in Loop: Header=BB5_270 Depth=1
	s_mov_b32 s44, 0
.LBB5_428:                              ;   Parent Loop BB5_270 Depth=1
                                        ; =>  This Inner Loop Header: Depth=2
	v_dual_mov_b32 v16, s2 :: v_dual_mov_b32 v17, s3
	s_sleep 1
	global_store_b64 v[6:7], v[18:19], off
	global_wb scope:SCOPE_SYS
	s_wait_storecnt 0x0
	s_wait_xcnt 0x0
	global_atomic_cmpswap_b64 v[16:17], v1, v[16:19], s[34:35] offset:24 th:TH_ATOMIC_RETURN scope:SCOPE_SYS
	s_wait_loadcnt 0x0
	v_cmp_eq_u64_e32 vcc_lo, v[16:17], v[18:19]
	v_mov_b64_e32 v[18:19], v[16:17]
	s_or_b32 s44, vcc_lo, s44
	s_delay_alu instid0(SALU_CYCLE_1)
	s_and_not1_b32 exec_lo, exec_lo, s44
	s_cbranch_execnz .LBB5_428
.LBB5_429:                              ;   in Loop: Header=BB5_270 Depth=1
	s_or_b32 exec_lo, exec_lo, s46
	s_lshl_b64 s[44:45], s[42:43], 2
	s_delay_alu instid0(SALU_CYCLE_1)
	s_add_nc_u64 s[2:3], s[24:25], s[44:45]
	global_load_b32 v0, v1, s[2:3]
	s_wait_loadcnt 0x0
	v_cmp_eq_u32_e32 vcc_lo, -1, v0
	v_readfirstlane_b32 s60, v0
	s_cbranch_vccnz .LBB5_535
; %bb.430:                              ;   in Loop: Header=BB5_270 Depth=1
	s_wait_xcnt 0x0
	v_readfirstlane_b32 s2, v56
	v_mov_b64_e32 v[6:7], 0
	s_delay_alu instid0(VALU_DEP_2)
	v_cmp_eq_u32_e64 s2, s2, v56
	s_and_saveexec_b32 s3, s2
	s_cbranch_execz .LBB5_436
; %bb.431:                              ;   in Loop: Header=BB5_270 Depth=1
	global_load_b64 v[18:19], v1, s[34:35] offset:24 scope:SCOPE_SYS
	s_wait_loadcnt 0x0
	global_inv scope:SCOPE_SYS
	s_clause 0x1
	global_load_b64 v[6:7], v1, s[34:35] offset:40
	global_load_b64 v[16:17], v1, s[34:35]
	s_mov_b32 s46, exec_lo
	s_wait_loadcnt 0x1
	v_and_b32_e32 v6, v6, v18
	v_and_b32_e32 v7, v7, v19
	s_delay_alu instid0(VALU_DEP_1) | instskip(SKIP_1) | instid1(VALU_DEP_1)
	v_mul_u64_e32 v[6:7], 24, v[6:7]
	s_wait_loadcnt 0x0
	v_add_nc_u64_e32 v[6:7], v[16:17], v[6:7]
	global_load_b64 v[16:17], v[6:7], off scope:SCOPE_SYS
	s_wait_xcnt 0x0
	s_wait_loadcnt 0x0
	global_atomic_cmpswap_b64 v[6:7], v1, v[16:19], s[34:35] offset:24 th:TH_ATOMIC_RETURN scope:SCOPE_SYS
	s_wait_loadcnt 0x0
	global_inv scope:SCOPE_SYS
	s_wait_xcnt 0x0
	v_cmpx_ne_u64_e64 v[6:7], v[18:19]
	s_cbranch_execz .LBB5_435
; %bb.432:                              ;   in Loop: Header=BB5_270 Depth=1
	s_mov_b32 s47, 0
.LBB5_433:                              ;   Parent Loop BB5_270 Depth=1
                                        ; =>  This Inner Loop Header: Depth=2
	s_sleep 1
	s_clause 0x1
	global_load_b64 v[16:17], v1, s[34:35] offset:40
	global_load_b64 v[20:21], v1, s[34:35]
	v_mov_b64_e32 v[18:19], v[6:7]
	s_wait_loadcnt 0x1
	s_delay_alu instid0(VALU_DEP_1) | instskip(SKIP_1) | instid1(VALU_DEP_1)
	v_and_b32_e32 v0, v16, v18
	s_wait_loadcnt 0x0
	v_mad_nc_u64_u32 v[6:7], v0, 24, v[20:21]
	s_delay_alu instid0(VALU_DEP_3) | instskip(NEXT) | instid1(VALU_DEP_1)
	v_and_b32_e32 v0, v17, v19
	v_mad_u32 v7, v0, 24, v7
	global_load_b64 v[16:17], v[6:7], off scope:SCOPE_SYS
	s_wait_xcnt 0x0
	s_wait_loadcnt 0x0
	global_atomic_cmpswap_b64 v[6:7], v1, v[16:19], s[34:35] offset:24 th:TH_ATOMIC_RETURN scope:SCOPE_SYS
	s_wait_loadcnt 0x0
	global_inv scope:SCOPE_SYS
	v_cmp_eq_u64_e32 vcc_lo, v[6:7], v[18:19]
	s_or_b32 s47, vcc_lo, s47
	s_wait_xcnt 0x0
	s_and_not1_b32 exec_lo, exec_lo, s47
	s_cbranch_execnz .LBB5_433
; %bb.434:                              ;   in Loop: Header=BB5_270 Depth=1
	s_or_b32 exec_lo, exec_lo, s47
.LBB5_435:                              ;   in Loop: Header=BB5_270 Depth=1
	s_delay_alu instid0(SALU_CYCLE_1)
	s_or_b32 exec_lo, exec_lo, s46
.LBB5_436:                              ;   in Loop: Header=BB5_270 Depth=1
	s_delay_alu instid0(SALU_CYCLE_1)
	s_or_b32 exec_lo, exec_lo, s3
	s_clause 0x1
	global_load_b64 v[20:21], v1, s[34:35] offset:40
	global_load_b128 v[16:19], v1, s[34:35]
	v_readfirstlane_b32 s46, v6
	v_readfirstlane_b32 s47, v7
	s_mov_b32 s3, exec_lo
	s_wait_loadcnt 0x1
	v_and_b32_e32 v6, s46, v20
	v_and_b32_e32 v7, s47, v21
	s_delay_alu instid0(VALU_DEP_1) | instskip(SKIP_1) | instid1(VALU_DEP_1)
	v_mul_u64_e32 v[20:21], 24, v[6:7]
	s_wait_loadcnt 0x0
	v_add_nc_u64_e32 v[20:21], v[16:17], v[20:21]
	s_wait_xcnt 0x0
	s_and_saveexec_b32 s48, s2
	s_cbranch_execz .LBB5_438
; %bb.437:                              ;   in Loop: Header=BB5_270 Depth=1
	v_mov_b32_e32 v0, s3
	global_store_b128 v[20:21], v[0:3], off offset:8
.LBB5_438:                              ;   in Loop: Header=BB5_270 Depth=1
	s_wait_xcnt 0x0
	s_or_b32 exec_lo, exec_lo, s48
	v_lshlrev_b64_e32 v[6:7], 12, v[6:7]
	v_mov_b64_e32 v[26:27], s[6:7]
	v_mov_b64_e32 v[24:25], s[4:5]
	v_mov_b32_e32 v5, v1
	s_delay_alu instid0(VALU_DEP_4) | instskip(SKIP_1) | instid1(VALU_DEP_2)
	v_add_nc_u64_e32 v[22:23], v[18:19], v[6:7]
	v_dual_mov_b32 v6, v1 :: v_dual_mov_b32 v7, v1
	v_readfirstlane_b32 s48, v22
	s_delay_alu instid0(VALU_DEP_3)
	v_readfirstlane_b32 s49, v23
	s_clause 0x3
	global_store_b128 v42, v[4:7], s[48:49]
	global_store_b128 v42, v[24:27], s[48:49] offset:16
	global_store_b128 v42, v[24:27], s[48:49] offset:32
	;; [unrolled: 1-line block ×3, first 2 shown]
	s_wait_xcnt 0x0
	s_and_saveexec_b32 s3, s2
	s_cbranch_execz .LBB5_446
; %bb.439:                              ;   in Loop: Header=BB5_270 Depth=1
	s_clause 0x1
	global_load_b64 v[26:27], v1, s[34:35] offset:32 scope:SCOPE_SYS
	global_load_b64 v[6:7], v1, s[34:35] offset:40
	s_mov_b32 s48, exec_lo
	v_dual_mov_b32 v24, s46 :: v_dual_mov_b32 v25, s47
	s_wait_loadcnt 0x0
	v_and_b32_e32 v7, s47, v7
	v_and_b32_e32 v6, s46, v6
	s_delay_alu instid0(VALU_DEP_1) | instskip(NEXT) | instid1(VALU_DEP_1)
	v_mul_u64_e32 v[6:7], 24, v[6:7]
	v_add_nc_u64_e32 v[6:7], v[16:17], v[6:7]
	global_store_b64 v[6:7], v[26:27], off
	global_wb scope:SCOPE_SYS
	s_wait_storecnt 0x0
	s_wait_xcnt 0x0
	global_atomic_cmpswap_b64 v[18:19], v1, v[24:27], s[34:35] offset:32 th:TH_ATOMIC_RETURN scope:SCOPE_SYS
	s_wait_loadcnt 0x0
	v_cmpx_ne_u64_e64 v[18:19], v[26:27]
	s_cbranch_execz .LBB5_442
; %bb.440:                              ;   in Loop: Header=BB5_270 Depth=1
	s_mov_b32 s49, 0
.LBB5_441:                              ;   Parent Loop BB5_270 Depth=1
                                        ; =>  This Inner Loop Header: Depth=2
	v_dual_mov_b32 v16, s46 :: v_dual_mov_b32 v17, s47
	s_sleep 1
	global_store_b64 v[6:7], v[18:19], off
	global_wb scope:SCOPE_SYS
	s_wait_storecnt 0x0
	s_wait_xcnt 0x0
	global_atomic_cmpswap_b64 v[16:17], v1, v[16:19], s[34:35] offset:32 th:TH_ATOMIC_RETURN scope:SCOPE_SYS
	s_wait_loadcnt 0x0
	v_cmp_eq_u64_e32 vcc_lo, v[16:17], v[18:19]
	v_mov_b64_e32 v[18:19], v[16:17]
	s_or_b32 s49, vcc_lo, s49
	s_delay_alu instid0(SALU_CYCLE_1)
	s_and_not1_b32 exec_lo, exec_lo, s49
	s_cbranch_execnz .LBB5_441
.LBB5_442:                              ;   in Loop: Header=BB5_270 Depth=1
	s_or_b32 exec_lo, exec_lo, s48
	global_load_b64 v[6:7], v1, s[34:35] offset:16
	s_mov_b32 s49, exec_lo
	s_mov_b32 s48, exec_lo
	v_mbcnt_lo_u32_b32 v0, s49, 0
	s_wait_xcnt 0x0
	s_delay_alu instid0(VALU_DEP_1)
	v_cmpx_eq_u32_e32 0, v0
	s_cbranch_execz .LBB5_444
; %bb.443:                              ;   in Loop: Header=BB5_270 Depth=1
	s_bcnt1_i32_b32 s49, s49
	s_delay_alu instid0(SALU_CYCLE_1)
	v_mov_b32_e32 v0, s49
	global_wb scope:SCOPE_SYS
	s_wait_loadcnt 0x0
	s_wait_storecnt 0x0
	global_atomic_add_u64 v[6:7], v[0:1], off offset:8 scope:SCOPE_SYS
.LBB5_444:                              ;   in Loop: Header=BB5_270 Depth=1
	s_wait_xcnt 0x0
	s_or_b32 exec_lo, exec_lo, s48
	s_wait_loadcnt 0x0
	global_load_b64 v[16:17], v[6:7], off offset:16
	s_wait_loadcnt 0x0
	v_cmp_eq_u64_e32 vcc_lo, 0, v[16:17]
	s_cbranch_vccnz .LBB5_446
; %bb.445:                              ;   in Loop: Header=BB5_270 Depth=1
	global_load_b32 v0, v[6:7], off offset:24
	s_wait_loadcnt 0x0
	v_readfirstlane_b32 s48, v0
	global_wb scope:SCOPE_SYS
	s_wait_storecnt 0x0
	s_wait_xcnt 0x0
	global_store_b64 v[16:17], v[0:1], off scope:SCOPE_SYS
	s_and_b32 m0, s48, 0xffffff
	s_sendmsg sendmsg(MSG_INTERRUPT)
.LBB5_446:                              ;   in Loop: Header=BB5_270 Depth=1
	s_wait_xcnt 0x0
	s_or_b32 exec_lo, exec_lo, s3
	v_mov_b32_e32 v43, v1
	s_delay_alu instid0(VALU_DEP_1)
	v_add_nc_u64_e32 v[6:7], v[22:23], v[42:43]
	s_branch .LBB5_450
.LBB5_447:                              ;   in Loop: Header=BB5_450 Depth=2
	s_wait_xcnt 0x0
	s_or_b32 exec_lo, exec_lo, s3
	s_delay_alu instid0(VALU_DEP_1)
	v_readfirstlane_b32 s3, v0
	s_cmp_eq_u32 s3, 0
	s_cbranch_scc1 .LBB5_449
; %bb.448:                              ;   in Loop: Header=BB5_450 Depth=2
	s_sleep 1
	s_cbranch_execnz .LBB5_450
	s_branch .LBB5_452
.LBB5_449:                              ;   in Loop: Header=BB5_270 Depth=1
	s_branch .LBB5_452
.LBB5_450:                              ;   Parent Loop BB5_270 Depth=1
                                        ; =>  This Inner Loop Header: Depth=2
	v_mov_b32_e32 v0, 1
	s_and_saveexec_b32 s3, s2
	s_cbranch_execz .LBB5_447
; %bb.451:                              ;   in Loop: Header=BB5_450 Depth=2
	global_load_b32 v0, v[20:21], off offset:20 scope:SCOPE_SYS
	s_wait_loadcnt 0x0
	global_inv scope:SCOPE_SYS
	v_and_b32_e32 v0, 1, v0
	s_branch .LBB5_447
.LBB5_452:                              ;   in Loop: Header=BB5_270 Depth=1
	global_load_b64 v[20:21], v[6:7], off
	s_wait_xcnt 0x0
	s_and_saveexec_b32 s48, s2
	s_cbranch_execz .LBB5_456
; %bb.453:                              ;   in Loop: Header=BB5_270 Depth=1
	s_clause 0x2
	global_load_b64 v[6:7], v1, s[34:35] offset:40
	global_load_b64 v[24:25], v1, s[34:35] offset:24 scope:SCOPE_SYS
	global_load_b64 v[16:17], v1, s[34:35]
	s_wait_loadcnt 0x2
	v_readfirstlane_b32 s50, v6
	v_readfirstlane_b32 s51, v7
	s_add_nc_u64 s[2:3], s[50:51], 1
	s_delay_alu instid0(SALU_CYCLE_1) | instskip(NEXT) | instid1(SALU_CYCLE_1)
	s_add_nc_u64 s[46:47], s[2:3], s[46:47]
	s_cmp_eq_u64 s[46:47], 0
	s_cselect_b32 s3, s3, s47
	s_cselect_b32 s2, s2, s46
	s_delay_alu instid0(SALU_CYCLE_1) | instskip(SKIP_1) | instid1(SALU_CYCLE_1)
	v_dual_mov_b32 v23, s3 :: v_dual_mov_b32 v22, s2
	s_and_b64 s[46:47], s[2:3], s[50:51]
	s_mul_u64 s[46:47], s[46:47], 24
	s_wait_loadcnt 0x0
	v_add_nc_u64_e32 v[6:7], s[46:47], v[16:17]
	global_store_b64 v[6:7], v[24:25], off
	global_wb scope:SCOPE_SYS
	s_wait_storecnt 0x0
	s_wait_xcnt 0x0
	global_atomic_cmpswap_b64 v[18:19], v1, v[22:25], s[34:35] offset:24 th:TH_ATOMIC_RETURN scope:SCOPE_SYS
	s_wait_loadcnt 0x0
	v_cmp_ne_u64_e32 vcc_lo, v[18:19], v[24:25]
	s_and_b32 exec_lo, exec_lo, vcc_lo
	s_cbranch_execz .LBB5_456
; %bb.454:                              ;   in Loop: Header=BB5_270 Depth=1
	s_mov_b32 s46, 0
.LBB5_455:                              ;   Parent Loop BB5_270 Depth=1
                                        ; =>  This Inner Loop Header: Depth=2
	v_dual_mov_b32 v16, s2 :: v_dual_mov_b32 v17, s3
	s_sleep 1
	global_store_b64 v[6:7], v[18:19], off
	global_wb scope:SCOPE_SYS
	s_wait_storecnt 0x0
	s_wait_xcnt 0x0
	global_atomic_cmpswap_b64 v[16:17], v1, v[16:19], s[34:35] offset:24 th:TH_ATOMIC_RETURN scope:SCOPE_SYS
	s_wait_loadcnt 0x0
	v_cmp_eq_u64_e32 vcc_lo, v[16:17], v[18:19]
	v_mov_b64_e32 v[18:19], v[16:17]
	s_or_b32 s46, vcc_lo, s46
	s_delay_alu instid0(SALU_CYCLE_1)
	s_and_not1_b32 exec_lo, exec_lo, s46
	s_cbranch_execnz .LBB5_455
.LBB5_456:                              ;   in Loop: Header=BB5_270 Depth=1
	s_or_b32 exec_lo, exec_lo, s48
	s_delay_alu instid0(SALU_CYCLE_1)
	s_and_b32 vcc_lo, exec_lo, s56
	s_cbranch_vccz .LBB5_536
; %bb.457:                              ;   in Loop: Header=BB5_270 Depth=1
	s_wait_loadcnt 0x0
	v_dual_mov_b32 v17, v21 :: v_dual_bitop2_b32 v6, 2, v20 bitop3:0x40
	v_and_b32_e32 v16, -3, v20
	s_mov_b64 s[48:49], 6
	s_get_pc_i64 s[46:47]
	s_add_nc_u64 s[46:47], s[46:47], .str.3@rel64+4
	s_branch .LBB5_459
.LBB5_458:                              ;   in Loop: Header=BB5_459 Depth=2
	s_or_b32 exec_lo, exec_lo, s54
	s_sub_nc_u64 s[48:49], s[48:49], s[50:51]
	s_add_nc_u64 s[46:47], s[46:47], s[50:51]
	s_cmp_lg_u64 s[48:49], 0
	s_cbranch_scc0 .LBB5_534
.LBB5_459:                              ;   Parent Loop BB5_270 Depth=1
                                        ; =>  This Loop Header: Depth=2
                                        ;       Child Loop BB5_462 Depth 3
                                        ;       Child Loop BB5_469 Depth 3
	;; [unrolled: 1-line block ×11, first 2 shown]
	v_min_u64 v[18:19], s[48:49], 56
	v_cmp_gt_u64_e64 s2, s[48:49], 7
	s_and_b32 vcc_lo, exec_lo, s2
	v_readfirstlane_b32 s50, v18
	v_readfirstlane_b32 s51, v19
	s_cbranch_vccnz .LBB5_464
; %bb.460:                              ;   in Loop: Header=BB5_459 Depth=2
	v_mov_b64_e32 v[18:19], 0
	s_cmp_eq_u64 s[48:49], 0
	s_cbranch_scc1 .LBB5_463
; %bb.461:                              ;   in Loop: Header=BB5_459 Depth=2
	s_mov_b64 s[2:3], 0
	s_mov_b64 s[52:53], 0
.LBB5_462:                              ;   Parent Loop BB5_270 Depth=1
                                        ;     Parent Loop BB5_459 Depth=2
                                        ; =>    This Inner Loop Header: Depth=3
	s_wait_xcnt 0x0
	s_add_nc_u64 s[54:55], s[46:47], s[52:53]
	s_add_nc_u64 s[52:53], s[52:53], 1
	global_load_u8 v0, v1, s[54:55]
	s_cmp_lg_u32 s50, s52
	s_wait_loadcnt 0x0
	v_and_b32_e32 v0, 0xffff, v0
	s_delay_alu instid0(VALU_DEP_1) | instskip(SKIP_1) | instid1(VALU_DEP_1)
	v_lshlrev_b64_e32 v[22:23], s2, v[0:1]
	s_add_nc_u64 s[2:3], s[2:3], 8
	v_or_b32_e32 v18, v22, v18
	s_delay_alu instid0(VALU_DEP_2)
	v_or_b32_e32 v19, v23, v19
	s_cbranch_scc1 .LBB5_462
.LBB5_463:                              ;   in Loop: Header=BB5_459 Depth=2
	s_mov_b64 s[2:3], s[46:47]
	s_mov_b32 s61, 0
	s_cbranch_execz .LBB5_465
	s_branch .LBB5_466
.LBB5_464:                              ;   in Loop: Header=BB5_459 Depth=2
	s_add_nc_u64 s[2:3], s[46:47], 8
	s_mov_b32 s61, 0
.LBB5_465:                              ;   in Loop: Header=BB5_459 Depth=2
	global_load_b64 v[18:19], v1, s[46:47]
	s_add_co_i32 s61, s50, -8
.LBB5_466:                              ;   in Loop: Header=BB5_459 Depth=2
	s_delay_alu instid0(SALU_CYCLE_1)
	s_cmp_gt_u32 s61, 7
	s_cbranch_scc1 .LBB5_471
; %bb.467:                              ;   in Loop: Header=BB5_459 Depth=2
	v_mov_b64_e32 v[22:23], 0
	s_cmp_eq_u32 s61, 0
	s_cbranch_scc1 .LBB5_470
; %bb.468:                              ;   in Loop: Header=BB5_459 Depth=2
	s_mov_b64 s[52:53], 0
	s_wait_xcnt 0x0
	s_mov_b64 s[54:55], 0
.LBB5_469:                              ;   Parent Loop BB5_270 Depth=1
                                        ;     Parent Loop BB5_459 Depth=2
                                        ; =>    This Inner Loop Header: Depth=3
	s_wait_xcnt 0x0
	s_add_nc_u64 s[62:63], s[2:3], s[54:55]
	s_add_nc_u64 s[54:55], s[54:55], 1
	global_load_u8 v0, v1, s[62:63]
	s_cmp_lg_u32 s61, s54
	s_wait_loadcnt 0x0
	v_and_b32_e32 v0, 0xffff, v0
	s_delay_alu instid0(VALU_DEP_1) | instskip(SKIP_1) | instid1(VALU_DEP_1)
	v_lshlrev_b64_e32 v[24:25], s52, v[0:1]
	s_add_nc_u64 s[52:53], s[52:53], 8
	v_or_b32_e32 v22, v24, v22
	s_delay_alu instid0(VALU_DEP_2)
	v_or_b32_e32 v23, v25, v23
	s_cbranch_scc1 .LBB5_469
.LBB5_470:                              ;   in Loop: Header=BB5_459 Depth=2
	s_wait_xcnt 0x0
	s_mov_b64 s[52:53], s[2:3]
	s_mov_b32 s62, 0
	s_cbranch_execz .LBB5_472
	s_branch .LBB5_473
.LBB5_471:                              ;   in Loop: Header=BB5_459 Depth=2
	s_add_nc_u64 s[52:53], s[2:3], 8
	s_wait_xcnt 0x0
                                        ; implicit-def: $vgpr22_vgpr23
	s_mov_b32 s62, 0
.LBB5_472:                              ;   in Loop: Header=BB5_459 Depth=2
	global_load_b64 v[22:23], v1, s[2:3]
	s_add_co_i32 s62, s61, -8
.LBB5_473:                              ;   in Loop: Header=BB5_459 Depth=2
	s_delay_alu instid0(SALU_CYCLE_1)
	s_cmp_gt_u32 s62, 7
	s_cbranch_scc1 .LBB5_478
; %bb.474:                              ;   in Loop: Header=BB5_459 Depth=2
	v_mov_b64_e32 v[24:25], 0
	s_cmp_eq_u32 s62, 0
	s_cbranch_scc1 .LBB5_477
; %bb.475:                              ;   in Loop: Header=BB5_459 Depth=2
	s_wait_xcnt 0x0
	s_mov_b64 s[2:3], 0
	s_mov_b64 s[54:55], 0
.LBB5_476:                              ;   Parent Loop BB5_270 Depth=1
                                        ;     Parent Loop BB5_459 Depth=2
                                        ; =>    This Inner Loop Header: Depth=3
	s_wait_xcnt 0x0
	s_add_nc_u64 s[64:65], s[52:53], s[54:55]
	s_add_nc_u64 s[54:55], s[54:55], 1
	global_load_u8 v0, v1, s[64:65]
	s_cmp_lg_u32 s62, s54
	s_wait_loadcnt 0x0
	v_and_b32_e32 v0, 0xffff, v0
	s_delay_alu instid0(VALU_DEP_1) | instskip(SKIP_1) | instid1(VALU_DEP_1)
	v_lshlrev_b64_e32 v[26:27], s2, v[0:1]
	s_add_nc_u64 s[2:3], s[2:3], 8
	v_or_b32_e32 v24, v26, v24
	s_delay_alu instid0(VALU_DEP_2)
	v_or_b32_e32 v25, v27, v25
	s_cbranch_scc1 .LBB5_476
.LBB5_477:                              ;   in Loop: Header=BB5_459 Depth=2
	s_wait_xcnt 0x0
	s_mov_b64 s[2:3], s[52:53]
	s_mov_b32 s61, 0
	s_cbranch_execz .LBB5_479
	s_branch .LBB5_480
.LBB5_478:                              ;   in Loop: Header=BB5_459 Depth=2
	s_wait_xcnt 0x0
	s_add_nc_u64 s[2:3], s[52:53], 8
	s_mov_b32 s61, 0
.LBB5_479:                              ;   in Loop: Header=BB5_459 Depth=2
	global_load_b64 v[24:25], v1, s[52:53]
	s_add_co_i32 s61, s62, -8
.LBB5_480:                              ;   in Loop: Header=BB5_459 Depth=2
	s_delay_alu instid0(SALU_CYCLE_1)
	s_cmp_gt_u32 s61, 7
	s_cbranch_scc1 .LBB5_485
; %bb.481:                              ;   in Loop: Header=BB5_459 Depth=2
	v_mov_b64_e32 v[26:27], 0
	s_cmp_eq_u32 s61, 0
	s_cbranch_scc1 .LBB5_484
; %bb.482:                              ;   in Loop: Header=BB5_459 Depth=2
	s_wait_xcnt 0x0
	s_mov_b64 s[52:53], 0
	s_mov_b64 s[54:55], 0
.LBB5_483:                              ;   Parent Loop BB5_270 Depth=1
                                        ;     Parent Loop BB5_459 Depth=2
                                        ; =>    This Inner Loop Header: Depth=3
	s_wait_xcnt 0x0
	s_add_nc_u64 s[62:63], s[2:3], s[54:55]
	s_add_nc_u64 s[54:55], s[54:55], 1
	global_load_u8 v0, v1, s[62:63]
	s_cmp_lg_u32 s61, s54
	s_wait_loadcnt 0x0
	v_and_b32_e32 v0, 0xffff, v0
	s_delay_alu instid0(VALU_DEP_1) | instskip(SKIP_1) | instid1(VALU_DEP_1)
	v_lshlrev_b64_e32 v[28:29], s52, v[0:1]
	s_add_nc_u64 s[52:53], s[52:53], 8
	v_or_b32_e32 v26, v28, v26
	s_delay_alu instid0(VALU_DEP_2)
	v_or_b32_e32 v27, v29, v27
	s_cbranch_scc1 .LBB5_483
.LBB5_484:                              ;   in Loop: Header=BB5_459 Depth=2
	s_wait_xcnt 0x0
	s_mov_b64 s[52:53], s[2:3]
	s_mov_b32 s62, 0
	s_cbranch_execz .LBB5_486
	s_branch .LBB5_487
.LBB5_485:                              ;   in Loop: Header=BB5_459 Depth=2
	s_wait_xcnt 0x0
	s_add_nc_u64 s[52:53], s[2:3], 8
                                        ; implicit-def: $vgpr26_vgpr27
	s_mov_b32 s62, 0
.LBB5_486:                              ;   in Loop: Header=BB5_459 Depth=2
	global_load_b64 v[26:27], v1, s[2:3]
	s_add_co_i32 s62, s61, -8
.LBB5_487:                              ;   in Loop: Header=BB5_459 Depth=2
	s_delay_alu instid0(SALU_CYCLE_1)
	s_cmp_gt_u32 s62, 7
	s_cbranch_scc1 .LBB5_492
; %bb.488:                              ;   in Loop: Header=BB5_459 Depth=2
	v_mov_b64_e32 v[28:29], 0
	s_cmp_eq_u32 s62, 0
	s_cbranch_scc1 .LBB5_491
; %bb.489:                              ;   in Loop: Header=BB5_459 Depth=2
	s_wait_xcnt 0x0
	s_mov_b64 s[2:3], 0
	s_mov_b64 s[54:55], 0
.LBB5_490:                              ;   Parent Loop BB5_270 Depth=1
                                        ;     Parent Loop BB5_459 Depth=2
                                        ; =>    This Inner Loop Header: Depth=3
	s_wait_xcnt 0x0
	s_add_nc_u64 s[64:65], s[52:53], s[54:55]
	s_add_nc_u64 s[54:55], s[54:55], 1
	global_load_u8 v0, v1, s[64:65]
	s_cmp_lg_u32 s62, s54
	s_wait_loadcnt 0x0
	v_and_b32_e32 v0, 0xffff, v0
	s_delay_alu instid0(VALU_DEP_1) | instskip(SKIP_1) | instid1(VALU_DEP_1)
	v_lshlrev_b64_e32 v[30:31], s2, v[0:1]
	s_add_nc_u64 s[2:3], s[2:3], 8
	v_or_b32_e32 v28, v30, v28
	s_delay_alu instid0(VALU_DEP_2)
	v_or_b32_e32 v29, v31, v29
	s_cbranch_scc1 .LBB5_490
.LBB5_491:                              ;   in Loop: Header=BB5_459 Depth=2
	s_wait_xcnt 0x0
	s_mov_b64 s[2:3], s[52:53]
	s_mov_b32 s61, 0
	s_cbranch_execz .LBB5_493
	s_branch .LBB5_494
.LBB5_492:                              ;   in Loop: Header=BB5_459 Depth=2
	s_wait_xcnt 0x0
	s_add_nc_u64 s[2:3], s[52:53], 8
	s_mov_b32 s61, 0
.LBB5_493:                              ;   in Loop: Header=BB5_459 Depth=2
	global_load_b64 v[28:29], v1, s[52:53]
	s_add_co_i32 s61, s62, -8
.LBB5_494:                              ;   in Loop: Header=BB5_459 Depth=2
	s_delay_alu instid0(SALU_CYCLE_1)
	s_cmp_gt_u32 s61, 7
	s_cbranch_scc1 .LBB5_499
; %bb.495:                              ;   in Loop: Header=BB5_459 Depth=2
	v_mov_b64_e32 v[30:31], 0
	s_cmp_eq_u32 s61, 0
	s_cbranch_scc1 .LBB5_498
; %bb.496:                              ;   in Loop: Header=BB5_459 Depth=2
	s_wait_xcnt 0x0
	s_mov_b64 s[52:53], 0
	s_mov_b64 s[54:55], 0
.LBB5_497:                              ;   Parent Loop BB5_270 Depth=1
                                        ;     Parent Loop BB5_459 Depth=2
                                        ; =>    This Inner Loop Header: Depth=3
	s_wait_xcnt 0x0
	s_add_nc_u64 s[62:63], s[2:3], s[54:55]
	s_add_nc_u64 s[54:55], s[54:55], 1
	global_load_u8 v0, v1, s[62:63]
	s_cmp_lg_u32 s61, s54
	s_wait_loadcnt 0x0
	v_and_b32_e32 v0, 0xffff, v0
	s_delay_alu instid0(VALU_DEP_1) | instskip(SKIP_1) | instid1(VALU_DEP_1)
	v_lshlrev_b64_e32 v[32:33], s52, v[0:1]
	s_add_nc_u64 s[52:53], s[52:53], 8
	v_or_b32_e32 v30, v32, v30
	s_delay_alu instid0(VALU_DEP_2)
	v_or_b32_e32 v31, v33, v31
	s_cbranch_scc1 .LBB5_497
.LBB5_498:                              ;   in Loop: Header=BB5_459 Depth=2
	s_wait_xcnt 0x0
	s_mov_b64 s[52:53], s[2:3]
	s_mov_b32 s62, 0
	s_cbranch_execz .LBB5_500
	s_branch .LBB5_501
.LBB5_499:                              ;   in Loop: Header=BB5_459 Depth=2
	s_wait_xcnt 0x0
	s_add_nc_u64 s[52:53], s[2:3], 8
                                        ; implicit-def: $vgpr30_vgpr31
	s_mov_b32 s62, 0
.LBB5_500:                              ;   in Loop: Header=BB5_459 Depth=2
	global_load_b64 v[30:31], v1, s[2:3]
	s_add_co_i32 s62, s61, -8
.LBB5_501:                              ;   in Loop: Header=BB5_459 Depth=2
	s_delay_alu instid0(SALU_CYCLE_1)
	s_cmp_gt_u32 s62, 7
	s_cbranch_scc1 .LBB5_506
; %bb.502:                              ;   in Loop: Header=BB5_459 Depth=2
	v_mov_b64_e32 v[32:33], 0
	s_cmp_eq_u32 s62, 0
	s_cbranch_scc1 .LBB5_505
; %bb.503:                              ;   in Loop: Header=BB5_459 Depth=2
	s_wait_xcnt 0x0
	s_mov_b64 s[2:3], 0
	s_mov_b64 s[54:55], s[52:53]
.LBB5_504:                              ;   Parent Loop BB5_270 Depth=1
                                        ;     Parent Loop BB5_459 Depth=2
                                        ; =>    This Inner Loop Header: Depth=3
	global_load_u8 v0, v1, s[54:55]
	s_add_co_i32 s62, s62, -1
	s_wait_xcnt 0x0
	s_add_nc_u64 s[54:55], s[54:55], 1
	s_cmp_lg_u32 s62, 0
	s_wait_loadcnt 0x0
	v_and_b32_e32 v0, 0xffff, v0
	s_delay_alu instid0(VALU_DEP_1) | instskip(SKIP_1) | instid1(VALU_DEP_1)
	v_lshlrev_b64_e32 v[34:35], s2, v[0:1]
	s_add_nc_u64 s[2:3], s[2:3], 8
	v_or_b32_e32 v32, v34, v32
	s_delay_alu instid0(VALU_DEP_2)
	v_or_b32_e32 v33, v35, v33
	s_cbranch_scc1 .LBB5_504
.LBB5_505:                              ;   in Loop: Header=BB5_459 Depth=2
	s_wait_xcnt 0x0
	s_cbranch_execz .LBB5_507
	s_branch .LBB5_508
.LBB5_506:                              ;   in Loop: Header=BB5_459 Depth=2
	s_wait_xcnt 0x0
.LBB5_507:                              ;   in Loop: Header=BB5_459 Depth=2
	global_load_b64 v[32:33], v1, s[52:53]
.LBB5_508:                              ;   in Loop: Header=BB5_459 Depth=2
	v_readfirstlane_b32 s2, v56
	v_mov_b64_e32 v[38:39], 0
	s_delay_alu instid0(VALU_DEP_2)
	v_cmp_eq_u32_e64 s2, s2, v56
	s_wait_xcnt 0x0
	s_and_saveexec_b32 s3, s2
	s_cbranch_execz .LBB5_514
; %bb.509:                              ;   in Loop: Header=BB5_459 Depth=2
	global_load_b64 v[36:37], v1, s[34:35] offset:24 scope:SCOPE_SYS
	s_wait_loadcnt 0x0
	global_inv scope:SCOPE_SYS
	s_clause 0x1
	global_load_b64 v[34:35], v1, s[34:35] offset:40
	global_load_b64 v[38:39], v1, s[34:35]
	s_mov_b32 s52, exec_lo
	s_wait_loadcnt 0x1
	v_and_b32_e32 v34, v34, v36
	v_and_b32_e32 v35, v35, v37
	s_delay_alu instid0(VALU_DEP_1) | instskip(SKIP_1) | instid1(VALU_DEP_1)
	v_mul_u64_e32 v[34:35], 24, v[34:35]
	s_wait_loadcnt 0x0
	v_add_nc_u64_e32 v[34:35], v[38:39], v[34:35]
	global_load_b64 v[34:35], v[34:35], off scope:SCOPE_SYS
	s_wait_xcnt 0x0
	s_wait_loadcnt 0x0
	global_atomic_cmpswap_b64 v[38:39], v1, v[34:37], s[34:35] offset:24 th:TH_ATOMIC_RETURN scope:SCOPE_SYS
	s_wait_loadcnt 0x0
	global_inv scope:SCOPE_SYS
	s_wait_xcnt 0x0
	v_cmpx_ne_u64_e64 v[38:39], v[36:37]
	s_cbranch_execz .LBB5_513
; %bb.510:                              ;   in Loop: Header=BB5_459 Depth=2
	s_mov_b32 s53, 0
.LBB5_511:                              ;   Parent Loop BB5_270 Depth=1
                                        ;     Parent Loop BB5_459 Depth=2
                                        ; =>    This Inner Loop Header: Depth=3
	s_sleep 1
	s_clause 0x1
	global_load_b64 v[34:35], v1, s[34:35] offset:40
	global_load_b64 v[44:45], v1, s[34:35]
	v_mov_b64_e32 v[36:37], v[38:39]
	s_wait_loadcnt 0x1
	s_delay_alu instid0(VALU_DEP_1) | instskip(SKIP_1) | instid1(VALU_DEP_1)
	v_and_b32_e32 v0, v34, v36
	s_wait_loadcnt 0x0
	v_mad_nc_u64_u32 v[38:39], v0, 24, v[44:45]
	s_delay_alu instid0(VALU_DEP_3) | instskip(NEXT) | instid1(VALU_DEP_1)
	v_and_b32_e32 v0, v35, v37
	v_mad_u32 v39, v0, 24, v39
	global_load_b64 v[34:35], v[38:39], off scope:SCOPE_SYS
	s_wait_xcnt 0x0
	s_wait_loadcnt 0x0
	global_atomic_cmpswap_b64 v[38:39], v1, v[34:37], s[34:35] offset:24 th:TH_ATOMIC_RETURN scope:SCOPE_SYS
	s_wait_loadcnt 0x0
	global_inv scope:SCOPE_SYS
	v_cmp_eq_u64_e32 vcc_lo, v[38:39], v[36:37]
	s_or_b32 s53, vcc_lo, s53
	s_wait_xcnt 0x0
	s_and_not1_b32 exec_lo, exec_lo, s53
	s_cbranch_execnz .LBB5_511
; %bb.512:                              ;   in Loop: Header=BB5_459 Depth=2
	s_or_b32 exec_lo, exec_lo, s53
.LBB5_513:                              ;   in Loop: Header=BB5_459 Depth=2
	s_delay_alu instid0(SALU_CYCLE_1)
	s_or_b32 exec_lo, exec_lo, s52
.LBB5_514:                              ;   in Loop: Header=BB5_459 Depth=2
	s_delay_alu instid0(SALU_CYCLE_1)
	s_or_b32 exec_lo, exec_lo, s3
	s_clause 0x1
	global_load_b64 v[44:45], v1, s[34:35] offset:40
	global_load_b128 v[34:37], v1, s[34:35]
	v_readfirstlane_b32 s52, v38
	v_readfirstlane_b32 s53, v39
	s_mov_b32 s3, exec_lo
	s_wait_loadcnt 0x1
	v_and_b32_e32 v44, s52, v44
	v_and_b32_e32 v45, s53, v45
	s_delay_alu instid0(VALU_DEP_1) | instskip(SKIP_1) | instid1(VALU_DEP_1)
	v_mul_u64_e32 v[38:39], 24, v[44:45]
	s_wait_loadcnt 0x0
	v_add_nc_u64_e32 v[38:39], v[34:35], v[38:39]
	s_wait_xcnt 0x0
	s_and_saveexec_b32 s54, s2
	s_cbranch_execz .LBB5_516
; %bb.515:                              ;   in Loop: Header=BB5_459 Depth=2
	v_mov_b32_e32 v0, s3
	global_store_b128 v[38:39], v[0:3], off offset:8
.LBB5_516:                              ;   in Loop: Header=BB5_459 Depth=2
	s_wait_xcnt 0x0
	s_or_b32 exec_lo, exec_lo, s54
	v_cmp_lt_u64_e64 vcc_lo, s[48:49], 57
	v_lshlrev_b64_e32 v[44:45], 12, v[44:45]
	v_and_b32_e32 v5, 0xffffff1f, v16
	s_lshl_b32 s3, s50, 2
	s_delay_alu instid0(SALU_CYCLE_1) | instskip(SKIP_1) | instid1(VALU_DEP_3)
	s_add_co_i32 s3, s3, 28
	v_cndmask_b32_e32 v0, 0, v6, vcc_lo
	v_add_nc_u64_e32 v[36:37], v[36:37], v[44:45]
	s_delay_alu instid0(VALU_DEP_2) | instskip(NEXT) | instid1(VALU_DEP_2)
	v_or_b32_e32 v0, v5, v0
	v_readfirstlane_b32 s54, v36
	s_delay_alu instid0(VALU_DEP_3) | instskip(NEXT) | instid1(VALU_DEP_3)
	v_readfirstlane_b32 s55, v37
	v_and_or_b32 v16, 0x1e0, s3, v0
	s_clause 0x3
	global_store_b128 v42, v[16:19], s[54:55]
	global_store_b128 v42, v[22:25], s[54:55] offset:16
	global_store_b128 v42, v[26:29], s[54:55] offset:32
	;; [unrolled: 1-line block ×3, first 2 shown]
	s_wait_xcnt 0x0
	s_and_saveexec_b32 s3, s2
	s_cbranch_execz .LBB5_524
; %bb.517:                              ;   in Loop: Header=BB5_459 Depth=2
	s_clause 0x1
	global_load_b64 v[26:27], v1, s[34:35] offset:32 scope:SCOPE_SYS
	global_load_b64 v[16:17], v1, s[34:35] offset:40
	s_mov_b32 s54, exec_lo
	v_dual_mov_b32 v24, s52 :: v_dual_mov_b32 v25, s53
	s_wait_loadcnt 0x0
	v_and_b32_e32 v17, s53, v17
	v_and_b32_e32 v16, s52, v16
	s_delay_alu instid0(VALU_DEP_1) | instskip(NEXT) | instid1(VALU_DEP_1)
	v_mul_u64_e32 v[16:17], 24, v[16:17]
	v_add_nc_u64_e32 v[22:23], v[34:35], v[16:17]
	global_store_b64 v[22:23], v[26:27], off
	global_wb scope:SCOPE_SYS
	s_wait_storecnt 0x0
	s_wait_xcnt 0x0
	global_atomic_cmpswap_b64 v[18:19], v1, v[24:27], s[34:35] offset:32 th:TH_ATOMIC_RETURN scope:SCOPE_SYS
	s_wait_loadcnt 0x0
	v_cmpx_ne_u64_e64 v[18:19], v[26:27]
	s_cbranch_execz .LBB5_520
; %bb.518:                              ;   in Loop: Header=BB5_459 Depth=2
	s_mov_b32 s55, 0
.LBB5_519:                              ;   Parent Loop BB5_270 Depth=1
                                        ;     Parent Loop BB5_459 Depth=2
                                        ; =>    This Inner Loop Header: Depth=3
	v_dual_mov_b32 v16, s52 :: v_dual_mov_b32 v17, s53
	s_sleep 1
	global_store_b64 v[22:23], v[18:19], off
	global_wb scope:SCOPE_SYS
	s_wait_storecnt 0x0
	s_wait_xcnt 0x0
	global_atomic_cmpswap_b64 v[16:17], v1, v[16:19], s[34:35] offset:32 th:TH_ATOMIC_RETURN scope:SCOPE_SYS
	s_wait_loadcnt 0x0
	v_cmp_eq_u64_e32 vcc_lo, v[16:17], v[18:19]
	v_mov_b64_e32 v[18:19], v[16:17]
	s_or_b32 s55, vcc_lo, s55
	s_delay_alu instid0(SALU_CYCLE_1)
	s_and_not1_b32 exec_lo, exec_lo, s55
	s_cbranch_execnz .LBB5_519
.LBB5_520:                              ;   in Loop: Header=BB5_459 Depth=2
	s_or_b32 exec_lo, exec_lo, s54
	global_load_b64 v[16:17], v1, s[34:35] offset:16
	s_mov_b32 s55, exec_lo
	s_mov_b32 s54, exec_lo
	v_mbcnt_lo_u32_b32 v0, s55, 0
	s_wait_xcnt 0x0
	s_delay_alu instid0(VALU_DEP_1)
	v_cmpx_eq_u32_e32 0, v0
	s_cbranch_execz .LBB5_522
; %bb.521:                              ;   in Loop: Header=BB5_459 Depth=2
	s_bcnt1_i32_b32 s55, s55
	s_delay_alu instid0(SALU_CYCLE_1)
	v_mov_b32_e32 v0, s55
	global_wb scope:SCOPE_SYS
	s_wait_loadcnt 0x0
	s_wait_storecnt 0x0
	global_atomic_add_u64 v[16:17], v[0:1], off offset:8 scope:SCOPE_SYS
.LBB5_522:                              ;   in Loop: Header=BB5_459 Depth=2
	s_wait_xcnt 0x0
	s_or_b32 exec_lo, exec_lo, s54
	s_wait_loadcnt 0x0
	global_load_b64 v[18:19], v[16:17], off offset:16
	s_wait_loadcnt 0x0
	v_cmp_eq_u64_e32 vcc_lo, 0, v[18:19]
	s_cbranch_vccnz .LBB5_524
; %bb.523:                              ;   in Loop: Header=BB5_459 Depth=2
	global_load_b32 v0, v[16:17], off offset:24
	s_wait_loadcnt 0x0
	v_readfirstlane_b32 s54, v0
	global_wb scope:SCOPE_SYS
	s_wait_storecnt 0x0
	s_wait_xcnt 0x0
	global_store_b64 v[18:19], v[0:1], off scope:SCOPE_SYS
	s_and_b32 m0, s54, 0xffffff
	s_sendmsg sendmsg(MSG_INTERRUPT)
.LBB5_524:                              ;   in Loop: Header=BB5_459 Depth=2
	s_wait_xcnt 0x0
	s_or_b32 exec_lo, exec_lo, s3
	v_mov_b32_e32 v43, v1
	s_delay_alu instid0(VALU_DEP_1)
	v_add_nc_u64_e32 v[16:17], v[36:37], v[42:43]
	s_branch .LBB5_528
.LBB5_525:                              ;   in Loop: Header=BB5_528 Depth=3
	s_wait_xcnt 0x0
	s_or_b32 exec_lo, exec_lo, s3
	s_delay_alu instid0(VALU_DEP_1)
	v_readfirstlane_b32 s3, v0
	s_cmp_eq_u32 s3, 0
	s_cbranch_scc1 .LBB5_527
; %bb.526:                              ;   in Loop: Header=BB5_528 Depth=3
	s_sleep 1
	s_cbranch_execnz .LBB5_528
	s_branch .LBB5_530
.LBB5_527:                              ;   in Loop: Header=BB5_459 Depth=2
	s_branch .LBB5_530
.LBB5_528:                              ;   Parent Loop BB5_270 Depth=1
                                        ;     Parent Loop BB5_459 Depth=2
                                        ; =>    This Inner Loop Header: Depth=3
	v_mov_b32_e32 v0, 1
	s_and_saveexec_b32 s3, s2
	s_cbranch_execz .LBB5_525
; %bb.529:                              ;   in Loop: Header=BB5_528 Depth=3
	global_load_b32 v0, v[38:39], off offset:20 scope:SCOPE_SYS
	s_wait_loadcnt 0x0
	global_inv scope:SCOPE_SYS
	v_and_b32_e32 v0, 1, v0
	s_branch .LBB5_525
.LBB5_530:                              ;   in Loop: Header=BB5_459 Depth=2
	global_load_b64 v[16:17], v[16:17], off
	s_wait_xcnt 0x0
	s_and_saveexec_b32 s54, s2
	s_cbranch_execz .LBB5_458
; %bb.531:                              ;   in Loop: Header=BB5_459 Depth=2
	s_clause 0x2
	global_load_b64 v[18:19], v1, s[34:35] offset:40
	global_load_b64 v[26:27], v1, s[34:35] offset:24 scope:SCOPE_SYS
	global_load_b64 v[22:23], v1, s[34:35]
	s_wait_loadcnt 0x2
	v_readfirstlane_b32 s62, v18
	v_readfirstlane_b32 s63, v19
	s_add_nc_u64 s[2:3], s[62:63], 1
	s_delay_alu instid0(SALU_CYCLE_1) | instskip(NEXT) | instid1(SALU_CYCLE_1)
	s_add_nc_u64 s[52:53], s[2:3], s[52:53]
	s_cmp_eq_u64 s[52:53], 0
	s_cselect_b32 s3, s3, s53
	s_cselect_b32 s2, s2, s52
	s_delay_alu instid0(SALU_CYCLE_1) | instskip(SKIP_1) | instid1(SALU_CYCLE_1)
	v_dual_mov_b32 v25, s3 :: v_dual_mov_b32 v24, s2
	s_and_b64 s[52:53], s[2:3], s[62:63]
	s_mul_u64 s[52:53], s[52:53], 24
	s_wait_loadcnt 0x0
	v_add_nc_u64_e32 v[18:19], s[52:53], v[22:23]
	global_store_b64 v[18:19], v[26:27], off
	global_wb scope:SCOPE_SYS
	s_wait_storecnt 0x0
	s_wait_xcnt 0x0
	global_atomic_cmpswap_b64 v[24:25], v1, v[24:27], s[34:35] offset:24 th:TH_ATOMIC_RETURN scope:SCOPE_SYS
	s_wait_loadcnt 0x0
	v_cmp_ne_u64_e32 vcc_lo, v[24:25], v[26:27]
	s_and_b32 exec_lo, exec_lo, vcc_lo
	s_cbranch_execz .LBB5_458
; %bb.532:                              ;   in Loop: Header=BB5_459 Depth=2
	s_mov_b32 s52, 0
.LBB5_533:                              ;   Parent Loop BB5_270 Depth=1
                                        ;     Parent Loop BB5_459 Depth=2
                                        ; =>    This Inner Loop Header: Depth=3
	v_dual_mov_b32 v22, s2 :: v_dual_mov_b32 v23, s3
	s_sleep 1
	global_store_b64 v[18:19], v[24:25], off
	global_wb scope:SCOPE_SYS
	s_wait_storecnt 0x0
	s_wait_xcnt 0x0
	global_atomic_cmpswap_b64 v[22:23], v1, v[22:25], s[34:35] offset:24 th:TH_ATOMIC_RETURN scope:SCOPE_SYS
	s_wait_loadcnt 0x0
	v_cmp_eq_u64_e32 vcc_lo, v[22:23], v[24:25]
	v_mov_b64_e32 v[24:25], v[22:23]
	s_or_b32 s52, vcc_lo, s52
	s_delay_alu instid0(SALU_CYCLE_1)
	s_and_not1_b32 exec_lo, exec_lo, s52
	s_cbranch_execnz .LBB5_533
	s_branch .LBB5_458
.LBB5_534:                              ;   in Loop: Header=BB5_270 Depth=1
	s_branch .LBB5_564
.LBB5_535:                              ;   in Loop: Header=BB5_270 Depth=1
	s_wait_xcnt 0x0
	s_cbranch_execnz .LBB5_702
	s_branch .LBB5_835
.LBB5_536:                              ;   in Loop: Header=BB5_270 Depth=1
                                        ; implicit-def: $vgpr16_vgpr17
	s_cbranch_execz .LBB5_564
; %bb.537:                              ;   in Loop: Header=BB5_270 Depth=1
	v_readfirstlane_b32 s2, v56
	v_mov_b64_e32 v[6:7], 0
	s_delay_alu instid0(VALU_DEP_2)
	v_cmp_eq_u32_e64 s2, s2, v56
	s_and_saveexec_b32 s3, s2
	s_cbranch_execz .LBB5_543
; %bb.538:                              ;   in Loop: Header=BB5_270 Depth=1
	global_load_b64 v[18:19], v1, s[34:35] offset:24 scope:SCOPE_SYS
	s_wait_loadcnt 0x0
	global_inv scope:SCOPE_SYS
	s_clause 0x1
	global_load_b64 v[6:7], v1, s[34:35] offset:40
	global_load_b64 v[16:17], v1, s[34:35]
	s_mov_b32 s46, exec_lo
	s_wait_loadcnt 0x1
	v_and_b32_e32 v6, v6, v18
	v_and_b32_e32 v7, v7, v19
	s_delay_alu instid0(VALU_DEP_1) | instskip(SKIP_1) | instid1(VALU_DEP_1)
	v_mul_u64_e32 v[6:7], 24, v[6:7]
	s_wait_loadcnt 0x0
	v_add_nc_u64_e32 v[6:7], v[16:17], v[6:7]
	global_load_b64 v[16:17], v[6:7], off scope:SCOPE_SYS
	s_wait_xcnt 0x0
	s_wait_loadcnt 0x0
	global_atomic_cmpswap_b64 v[6:7], v1, v[16:19], s[34:35] offset:24 th:TH_ATOMIC_RETURN scope:SCOPE_SYS
	s_wait_loadcnt 0x0
	global_inv scope:SCOPE_SYS
	s_wait_xcnt 0x0
	v_cmpx_ne_u64_e64 v[6:7], v[18:19]
	s_cbranch_execz .LBB5_542
; %bb.539:                              ;   in Loop: Header=BB5_270 Depth=1
	s_mov_b32 s47, 0
.LBB5_540:                              ;   Parent Loop BB5_270 Depth=1
                                        ; =>  This Inner Loop Header: Depth=2
	s_sleep 1
	s_clause 0x1
	global_load_b64 v[16:17], v1, s[34:35] offset:40
	global_load_b64 v[22:23], v1, s[34:35]
	v_mov_b64_e32 v[18:19], v[6:7]
	s_wait_loadcnt 0x1
	s_delay_alu instid0(VALU_DEP_1) | instskip(SKIP_1) | instid1(VALU_DEP_1)
	v_and_b32_e32 v0, v16, v18
	s_wait_loadcnt 0x0
	v_mad_nc_u64_u32 v[6:7], v0, 24, v[22:23]
	s_delay_alu instid0(VALU_DEP_3) | instskip(NEXT) | instid1(VALU_DEP_1)
	v_and_b32_e32 v0, v17, v19
	v_mad_u32 v7, v0, 24, v7
	global_load_b64 v[16:17], v[6:7], off scope:SCOPE_SYS
	s_wait_xcnt 0x0
	s_wait_loadcnt 0x0
	global_atomic_cmpswap_b64 v[6:7], v1, v[16:19], s[34:35] offset:24 th:TH_ATOMIC_RETURN scope:SCOPE_SYS
	s_wait_loadcnt 0x0
	global_inv scope:SCOPE_SYS
	v_cmp_eq_u64_e32 vcc_lo, v[6:7], v[18:19]
	s_or_b32 s47, vcc_lo, s47
	s_wait_xcnt 0x0
	s_and_not1_b32 exec_lo, exec_lo, s47
	s_cbranch_execnz .LBB5_540
; %bb.541:                              ;   in Loop: Header=BB5_270 Depth=1
	s_or_b32 exec_lo, exec_lo, s47
.LBB5_542:                              ;   in Loop: Header=BB5_270 Depth=1
	s_delay_alu instid0(SALU_CYCLE_1)
	s_or_b32 exec_lo, exec_lo, s46
.LBB5_543:                              ;   in Loop: Header=BB5_270 Depth=1
	s_delay_alu instid0(SALU_CYCLE_1)
	s_or_b32 exec_lo, exec_lo, s3
	global_load_b64 v[22:23], v1, s[34:35] offset:40
	s_wait_loadcnt 0x1
	global_load_b128 v[16:19], v1, s[34:35]
	v_readfirstlane_b32 s46, v6
	v_readfirstlane_b32 s47, v7
	s_mov_b32 s3, exec_lo
	s_wait_loadcnt 0x1
	v_and_b32_e32 v22, s46, v22
	v_and_b32_e32 v23, s47, v23
	s_delay_alu instid0(VALU_DEP_1) | instskip(SKIP_1) | instid1(VALU_DEP_1)
	v_mul_u64_e32 v[6:7], 24, v[22:23]
	s_wait_loadcnt 0x0
	v_add_nc_u64_e32 v[6:7], v[16:17], v[6:7]
	s_wait_xcnt 0x0
	s_and_saveexec_b32 s48, s2
	s_cbranch_execz .LBB5_545
; %bb.544:                              ;   in Loop: Header=BB5_270 Depth=1
	v_mov_b32_e32 v0, s3
	global_store_b128 v[6:7], v[0:3], off offset:8
.LBB5_545:                              ;   in Loop: Header=BB5_270 Depth=1
	s_wait_xcnt 0x0
	s_or_b32 exec_lo, exec_lo, s48
	v_lshlrev_b64_e32 v[22:23], 12, v[22:23]
	v_mov_b64_e32 v[28:29], s[6:7]
	v_mov_b64_e32 v[26:27], s[4:5]
	v_and_or_b32 v20, 0xffffff1f, v20, 32
	s_delay_alu instid0(VALU_DEP_4) | instskip(SKIP_1) | instid1(VALU_DEP_2)
	v_add_nc_u64_e32 v[24:25], v[18:19], v[22:23]
	v_dual_mov_b32 v22, v1 :: v_dual_mov_b32 v23, v1
	v_readfirstlane_b32 s48, v24
	s_delay_alu instid0(VALU_DEP_3)
	v_readfirstlane_b32 s49, v25
	s_clause 0x3
	global_store_b128 v42, v[20:23], s[48:49]
	global_store_b128 v42, v[26:29], s[48:49] offset:16
	global_store_b128 v42, v[26:29], s[48:49] offset:32
	;; [unrolled: 1-line block ×3, first 2 shown]
	s_wait_xcnt 0x0
	s_and_saveexec_b32 s3, s2
	s_cbranch_execz .LBB5_553
; %bb.546:                              ;   in Loop: Header=BB5_270 Depth=1
	s_clause 0x1
	global_load_b64 v[28:29], v1, s[34:35] offset:32 scope:SCOPE_SYS
	global_load_b64 v[18:19], v1, s[34:35] offset:40
	s_mov_b32 s48, exec_lo
	v_dual_mov_b32 v26, s46 :: v_dual_mov_b32 v27, s47
	s_wait_loadcnt 0x0
	v_and_b32_e32 v19, s47, v19
	v_and_b32_e32 v18, s46, v18
	s_delay_alu instid0(VALU_DEP_1) | instskip(NEXT) | instid1(VALU_DEP_1)
	v_mul_u64_e32 v[18:19], 24, v[18:19]
	v_add_nc_u64_e32 v[20:21], v[16:17], v[18:19]
	global_store_b64 v[20:21], v[28:29], off
	global_wb scope:SCOPE_SYS
	s_wait_storecnt 0x0
	s_wait_xcnt 0x0
	global_atomic_cmpswap_b64 v[18:19], v1, v[26:29], s[34:35] offset:32 th:TH_ATOMIC_RETURN scope:SCOPE_SYS
	s_wait_loadcnt 0x0
	v_cmpx_ne_u64_e64 v[18:19], v[28:29]
	s_cbranch_execz .LBB5_549
; %bb.547:                              ;   in Loop: Header=BB5_270 Depth=1
	s_mov_b32 s49, 0
.LBB5_548:                              ;   Parent Loop BB5_270 Depth=1
                                        ; =>  This Inner Loop Header: Depth=2
	v_dual_mov_b32 v16, s46 :: v_dual_mov_b32 v17, s47
	s_sleep 1
	global_store_b64 v[20:21], v[18:19], off
	global_wb scope:SCOPE_SYS
	s_wait_storecnt 0x0
	s_wait_xcnt 0x0
	global_atomic_cmpswap_b64 v[16:17], v1, v[16:19], s[34:35] offset:32 th:TH_ATOMIC_RETURN scope:SCOPE_SYS
	s_wait_loadcnt 0x0
	v_cmp_eq_u64_e32 vcc_lo, v[16:17], v[18:19]
	v_mov_b64_e32 v[18:19], v[16:17]
	s_or_b32 s49, vcc_lo, s49
	s_delay_alu instid0(SALU_CYCLE_1)
	s_and_not1_b32 exec_lo, exec_lo, s49
	s_cbranch_execnz .LBB5_548
.LBB5_549:                              ;   in Loop: Header=BB5_270 Depth=1
	s_or_b32 exec_lo, exec_lo, s48
	global_load_b64 v[16:17], v1, s[34:35] offset:16
	s_mov_b32 s49, exec_lo
	s_mov_b32 s48, exec_lo
	v_mbcnt_lo_u32_b32 v0, s49, 0
	s_wait_xcnt 0x0
	s_delay_alu instid0(VALU_DEP_1)
	v_cmpx_eq_u32_e32 0, v0
	s_cbranch_execz .LBB5_551
; %bb.550:                              ;   in Loop: Header=BB5_270 Depth=1
	s_bcnt1_i32_b32 s49, s49
	s_delay_alu instid0(SALU_CYCLE_1)
	v_mov_b32_e32 v0, s49
	global_wb scope:SCOPE_SYS
	s_wait_loadcnt 0x0
	s_wait_storecnt 0x0
	global_atomic_add_u64 v[16:17], v[0:1], off offset:8 scope:SCOPE_SYS
.LBB5_551:                              ;   in Loop: Header=BB5_270 Depth=1
	s_wait_xcnt 0x0
	s_or_b32 exec_lo, exec_lo, s48
	s_wait_loadcnt 0x0
	global_load_b64 v[18:19], v[16:17], off offset:16
	s_wait_loadcnt 0x0
	v_cmp_eq_u64_e32 vcc_lo, 0, v[18:19]
	s_cbranch_vccnz .LBB5_553
; %bb.552:                              ;   in Loop: Header=BB5_270 Depth=1
	global_load_b32 v0, v[16:17], off offset:24
	s_wait_loadcnt 0x0
	v_readfirstlane_b32 s48, v0
	global_wb scope:SCOPE_SYS
	s_wait_storecnt 0x0
	s_wait_xcnt 0x0
	global_store_b64 v[18:19], v[0:1], off scope:SCOPE_SYS
	s_and_b32 m0, s48, 0xffffff
	s_sendmsg sendmsg(MSG_INTERRUPT)
.LBB5_553:                              ;   in Loop: Header=BB5_270 Depth=1
	s_wait_xcnt 0x0
	s_or_b32 exec_lo, exec_lo, s3
	v_mov_b32_e32 v43, v1
	s_delay_alu instid0(VALU_DEP_1)
	v_add_nc_u64_e32 v[16:17], v[24:25], v[42:43]
	s_branch .LBB5_557
.LBB5_554:                              ;   in Loop: Header=BB5_557 Depth=2
	s_wait_xcnt 0x0
	s_or_b32 exec_lo, exec_lo, s3
	s_delay_alu instid0(VALU_DEP_1)
	v_readfirstlane_b32 s3, v0
	s_cmp_eq_u32 s3, 0
	s_cbranch_scc1 .LBB5_556
; %bb.555:                              ;   in Loop: Header=BB5_557 Depth=2
	s_sleep 1
	s_cbranch_execnz .LBB5_557
	s_branch .LBB5_559
.LBB5_556:                              ;   in Loop: Header=BB5_270 Depth=1
	s_branch .LBB5_559
.LBB5_557:                              ;   Parent Loop BB5_270 Depth=1
                                        ; =>  This Inner Loop Header: Depth=2
	v_mov_b32_e32 v0, 1
	s_and_saveexec_b32 s3, s2
	s_cbranch_execz .LBB5_554
; %bb.558:                              ;   in Loop: Header=BB5_557 Depth=2
	global_load_b32 v0, v[6:7], off offset:20 scope:SCOPE_SYS
	s_wait_loadcnt 0x0
	global_inv scope:SCOPE_SYS
	v_and_b32_e32 v0, 1, v0
	s_branch .LBB5_554
.LBB5_559:                              ;   in Loop: Header=BB5_270 Depth=1
	global_load_b64 v[16:17], v[16:17], off
	s_wait_xcnt 0x0
	s_and_saveexec_b32 s48, s2
	s_cbranch_execz .LBB5_563
; %bb.560:                              ;   in Loop: Header=BB5_270 Depth=1
	s_clause 0x2
	global_load_b64 v[6:7], v1, s[34:35] offset:40
	global_load_b64 v[22:23], v1, s[34:35] offset:24 scope:SCOPE_SYS
	global_load_b64 v[18:19], v1, s[34:35]
	s_wait_loadcnt 0x2
	v_readfirstlane_b32 s50, v6
	v_readfirstlane_b32 s51, v7
	s_add_nc_u64 s[2:3], s[50:51], 1
	s_delay_alu instid0(SALU_CYCLE_1) | instskip(NEXT) | instid1(SALU_CYCLE_1)
	s_add_nc_u64 s[46:47], s[2:3], s[46:47]
	s_cmp_eq_u64 s[46:47], 0
	s_cselect_b32 s3, s3, s47
	s_cselect_b32 s2, s2, s46
	s_delay_alu instid0(SALU_CYCLE_1) | instskip(SKIP_1) | instid1(SALU_CYCLE_1)
	v_dual_mov_b32 v21, s3 :: v_dual_mov_b32 v20, s2
	s_and_b64 s[46:47], s[2:3], s[50:51]
	s_mul_u64 s[46:47], s[46:47], 24
	s_wait_loadcnt 0x0
	v_add_nc_u64_e32 v[6:7], s[46:47], v[18:19]
	global_store_b64 v[6:7], v[22:23], off
	global_wb scope:SCOPE_SYS
	s_wait_storecnt 0x0
	s_wait_xcnt 0x0
	global_atomic_cmpswap_b64 v[20:21], v1, v[20:23], s[34:35] offset:24 th:TH_ATOMIC_RETURN scope:SCOPE_SYS
	s_wait_loadcnt 0x0
	v_cmp_ne_u64_e32 vcc_lo, v[20:21], v[22:23]
	s_and_b32 exec_lo, exec_lo, vcc_lo
	s_cbranch_execz .LBB5_563
; %bb.561:                              ;   in Loop: Header=BB5_270 Depth=1
	s_mov_b32 s46, 0
.LBB5_562:                              ;   Parent Loop BB5_270 Depth=1
                                        ; =>  This Inner Loop Header: Depth=2
	v_dual_mov_b32 v18, s2 :: v_dual_mov_b32 v19, s3
	s_sleep 1
	global_store_b64 v[6:7], v[20:21], off
	global_wb scope:SCOPE_SYS
	s_wait_storecnt 0x0
	s_wait_xcnt 0x0
	global_atomic_cmpswap_b64 v[18:19], v1, v[18:21], s[34:35] offset:24 th:TH_ATOMIC_RETURN scope:SCOPE_SYS
	s_wait_loadcnt 0x0
	v_cmp_eq_u64_e32 vcc_lo, v[18:19], v[20:21]
	v_mov_b64_e32 v[20:21], v[18:19]
	s_or_b32 s46, vcc_lo, s46
	s_delay_alu instid0(SALU_CYCLE_1)
	s_and_not1_b32 exec_lo, exec_lo, s46
	s_cbranch_execnz .LBB5_562
.LBB5_563:                              ;   in Loop: Header=BB5_270 Depth=1
	s_or_b32 exec_lo, exec_lo, s48
.LBB5_564:                              ;   in Loop: Header=BB5_270 Depth=1
	s_bitcmp0_b32 s60, 0
	s_mov_b64 s[48:49], 0
	s_cselect_b32 s47, s41, s39
	s_cselect_b32 s46, s40, s38
	s_delay_alu instid0(SALU_CYCLE_1)
	s_cmp_lg_u64 s[46:47], 0
	s_cselect_b32 s50, -1, 0
	s_cmp_eq_u64 s[46:47], 0
	s_cbranch_scc1 .LBB5_568
; %bb.565:                              ;   in Loop: Header=BB5_270 Depth=1
	s_add_nc_u64 s[2:3], s[46:47], -1
.LBB5_566:                              ;   Parent Loop BB5_270 Depth=1
                                        ; =>  This Inner Loop Header: Depth=2
	s_load_u8 s48, s[2:3], 0x1
	s_wait_xcnt 0x0
	s_add_nc_u64 s[2:3], s[2:3], 1
	s_wait_kmcnt 0x0
	s_cmp_lg_u32 s48, 0
	s_cbranch_scc1 .LBB5_566
; %bb.567:                              ;   in Loop: Header=BB5_270 Depth=1
	s_sub_nc_u64 s[2:3], s[2:3], s[46:47]
	s_delay_alu instid0(SALU_CYCLE_1)
	s_add_nc_u64 s[48:49], s[2:3], 1
.LBB5_568:                              ;   in Loop: Header=BB5_270 Depth=1
	s_and_b32 vcc_lo, exec_lo, s50
	s_cbranch_vccz .LBB5_647
; %bb.569:                              ;   in Loop: Header=BB5_270 Depth=1
	s_wait_loadcnt 0x0
	v_dual_mov_b32 v19, v17 :: v_dual_bitop2_b32 v6, 2, v16 bitop3:0x40
	v_and_b32_e32 v18, -3, v16
	s_branch .LBB5_571
.LBB5_570:                              ;   in Loop: Header=BB5_571 Depth=2
	s_or_b32 exec_lo, exec_lo, s54
	s_sub_nc_u64 s[48:49], s[48:49], s[50:51]
	s_add_nc_u64 s[46:47], s[46:47], s[50:51]
	s_cmp_lg_u64 s[48:49], 0
	s_cbranch_scc0 .LBB5_646
.LBB5_571:                              ;   Parent Loop BB5_270 Depth=1
                                        ; =>  This Loop Header: Depth=2
                                        ;       Child Loop BB5_574 Depth 3
                                        ;       Child Loop BB5_581 Depth 3
	;; [unrolled: 1-line block ×11, first 2 shown]
	v_min_u64 v[20:21], s[48:49], 56
	v_cmp_gt_u64_e64 s2, s[48:49], 7
	s_and_b32 vcc_lo, exec_lo, s2
	v_readfirstlane_b32 s50, v20
	v_readfirstlane_b32 s51, v21
	s_cbranch_vccnz .LBB5_576
; %bb.572:                              ;   in Loop: Header=BB5_571 Depth=2
	v_mov_b64_e32 v[20:21], 0
	s_cmp_eq_u64 s[48:49], 0
	s_cbranch_scc1 .LBB5_575
; %bb.573:                              ;   in Loop: Header=BB5_571 Depth=2
	s_mov_b64 s[2:3], 0
	s_mov_b64 s[52:53], 0
.LBB5_574:                              ;   Parent Loop BB5_270 Depth=1
                                        ;     Parent Loop BB5_571 Depth=2
                                        ; =>    This Inner Loop Header: Depth=3
	s_wait_xcnt 0x0
	s_add_nc_u64 s[54:55], s[46:47], s[52:53]
	s_add_nc_u64 s[52:53], s[52:53], 1
	global_load_u8 v0, v1, s[54:55]
	s_cmp_lg_u32 s50, s52
	s_wait_loadcnt 0x0
	v_and_b32_e32 v0, 0xffff, v0
	s_delay_alu instid0(VALU_DEP_1) | instskip(SKIP_1) | instid1(VALU_DEP_1)
	v_lshlrev_b64_e32 v[22:23], s2, v[0:1]
	s_add_nc_u64 s[2:3], s[2:3], 8
	v_or_b32_e32 v20, v22, v20
	s_delay_alu instid0(VALU_DEP_2)
	v_or_b32_e32 v21, v23, v21
	s_cbranch_scc1 .LBB5_574
.LBB5_575:                              ;   in Loop: Header=BB5_571 Depth=2
	s_mov_b64 s[2:3], s[46:47]
	s_mov_b32 s61, 0
	s_cbranch_execz .LBB5_577
	s_branch .LBB5_578
.LBB5_576:                              ;   in Loop: Header=BB5_571 Depth=2
	s_add_nc_u64 s[2:3], s[46:47], 8
	s_mov_b32 s61, 0
.LBB5_577:                              ;   in Loop: Header=BB5_571 Depth=2
	global_load_b64 v[20:21], v1, s[46:47]
	s_add_co_i32 s61, s50, -8
.LBB5_578:                              ;   in Loop: Header=BB5_571 Depth=2
	s_delay_alu instid0(SALU_CYCLE_1)
	s_cmp_gt_u32 s61, 7
	s_cbranch_scc1 .LBB5_583
; %bb.579:                              ;   in Loop: Header=BB5_571 Depth=2
	v_mov_b64_e32 v[22:23], 0
	s_cmp_eq_u32 s61, 0
	s_cbranch_scc1 .LBB5_582
; %bb.580:                              ;   in Loop: Header=BB5_571 Depth=2
	s_mov_b64 s[52:53], 0
	s_wait_xcnt 0x0
	s_mov_b64 s[54:55], 0
.LBB5_581:                              ;   Parent Loop BB5_270 Depth=1
                                        ;     Parent Loop BB5_571 Depth=2
                                        ; =>    This Inner Loop Header: Depth=3
	s_wait_xcnt 0x0
	s_add_nc_u64 s[62:63], s[2:3], s[54:55]
	s_add_nc_u64 s[54:55], s[54:55], 1
	global_load_u8 v0, v1, s[62:63]
	s_cmp_lg_u32 s61, s54
	s_wait_loadcnt 0x0
	v_and_b32_e32 v0, 0xffff, v0
	s_delay_alu instid0(VALU_DEP_1) | instskip(SKIP_1) | instid1(VALU_DEP_1)
	v_lshlrev_b64_e32 v[24:25], s52, v[0:1]
	s_add_nc_u64 s[52:53], s[52:53], 8
	v_or_b32_e32 v22, v24, v22
	s_delay_alu instid0(VALU_DEP_2)
	v_or_b32_e32 v23, v25, v23
	s_cbranch_scc1 .LBB5_581
.LBB5_582:                              ;   in Loop: Header=BB5_571 Depth=2
	s_wait_xcnt 0x0
	s_mov_b64 s[52:53], s[2:3]
	s_mov_b32 s62, 0
	s_cbranch_execz .LBB5_584
	s_branch .LBB5_585
.LBB5_583:                              ;   in Loop: Header=BB5_571 Depth=2
	s_add_nc_u64 s[52:53], s[2:3], 8
	s_wait_xcnt 0x0
                                        ; implicit-def: $vgpr22_vgpr23
	s_mov_b32 s62, 0
.LBB5_584:                              ;   in Loop: Header=BB5_571 Depth=2
	global_load_b64 v[22:23], v1, s[2:3]
	s_add_co_i32 s62, s61, -8
.LBB5_585:                              ;   in Loop: Header=BB5_571 Depth=2
	s_delay_alu instid0(SALU_CYCLE_1)
	s_cmp_gt_u32 s62, 7
	s_cbranch_scc1 .LBB5_590
; %bb.586:                              ;   in Loop: Header=BB5_571 Depth=2
	v_mov_b64_e32 v[24:25], 0
	s_cmp_eq_u32 s62, 0
	s_cbranch_scc1 .LBB5_589
; %bb.587:                              ;   in Loop: Header=BB5_571 Depth=2
	s_wait_xcnt 0x0
	s_mov_b64 s[2:3], 0
	s_mov_b64 s[54:55], 0
.LBB5_588:                              ;   Parent Loop BB5_270 Depth=1
                                        ;     Parent Loop BB5_571 Depth=2
                                        ; =>    This Inner Loop Header: Depth=3
	s_wait_xcnt 0x0
	s_add_nc_u64 s[64:65], s[52:53], s[54:55]
	s_add_nc_u64 s[54:55], s[54:55], 1
	global_load_u8 v0, v1, s[64:65]
	s_cmp_lg_u32 s62, s54
	s_wait_loadcnt 0x0
	v_and_b32_e32 v0, 0xffff, v0
	s_delay_alu instid0(VALU_DEP_1) | instskip(SKIP_1) | instid1(VALU_DEP_1)
	v_lshlrev_b64_e32 v[26:27], s2, v[0:1]
	s_add_nc_u64 s[2:3], s[2:3], 8
	v_or_b32_e32 v24, v26, v24
	s_delay_alu instid0(VALU_DEP_2)
	v_or_b32_e32 v25, v27, v25
	s_cbranch_scc1 .LBB5_588
.LBB5_589:                              ;   in Loop: Header=BB5_571 Depth=2
	s_wait_xcnt 0x0
	s_mov_b64 s[2:3], s[52:53]
	s_mov_b32 s61, 0
	s_cbranch_execz .LBB5_591
	s_branch .LBB5_592
.LBB5_590:                              ;   in Loop: Header=BB5_571 Depth=2
	s_wait_xcnt 0x0
	s_add_nc_u64 s[2:3], s[52:53], 8
	s_mov_b32 s61, 0
.LBB5_591:                              ;   in Loop: Header=BB5_571 Depth=2
	global_load_b64 v[24:25], v1, s[52:53]
	s_add_co_i32 s61, s62, -8
.LBB5_592:                              ;   in Loop: Header=BB5_571 Depth=2
	s_delay_alu instid0(SALU_CYCLE_1)
	s_cmp_gt_u32 s61, 7
	s_cbranch_scc1 .LBB5_597
; %bb.593:                              ;   in Loop: Header=BB5_571 Depth=2
	v_mov_b64_e32 v[26:27], 0
	s_cmp_eq_u32 s61, 0
	s_cbranch_scc1 .LBB5_596
; %bb.594:                              ;   in Loop: Header=BB5_571 Depth=2
	s_wait_xcnt 0x0
	s_mov_b64 s[52:53], 0
	s_mov_b64 s[54:55], 0
.LBB5_595:                              ;   Parent Loop BB5_270 Depth=1
                                        ;     Parent Loop BB5_571 Depth=2
                                        ; =>    This Inner Loop Header: Depth=3
	s_wait_xcnt 0x0
	s_add_nc_u64 s[62:63], s[2:3], s[54:55]
	s_add_nc_u64 s[54:55], s[54:55], 1
	global_load_u8 v0, v1, s[62:63]
	s_cmp_lg_u32 s61, s54
	s_wait_loadcnt 0x0
	v_and_b32_e32 v0, 0xffff, v0
	s_delay_alu instid0(VALU_DEP_1) | instskip(SKIP_1) | instid1(VALU_DEP_1)
	v_lshlrev_b64_e32 v[28:29], s52, v[0:1]
	s_add_nc_u64 s[52:53], s[52:53], 8
	v_or_b32_e32 v26, v28, v26
	s_delay_alu instid0(VALU_DEP_2)
	v_or_b32_e32 v27, v29, v27
	s_cbranch_scc1 .LBB5_595
.LBB5_596:                              ;   in Loop: Header=BB5_571 Depth=2
	s_wait_xcnt 0x0
	s_mov_b64 s[52:53], s[2:3]
	s_mov_b32 s62, 0
	s_cbranch_execz .LBB5_598
	s_branch .LBB5_599
.LBB5_597:                              ;   in Loop: Header=BB5_571 Depth=2
	s_wait_xcnt 0x0
	s_add_nc_u64 s[52:53], s[2:3], 8
                                        ; implicit-def: $vgpr26_vgpr27
	s_mov_b32 s62, 0
.LBB5_598:                              ;   in Loop: Header=BB5_571 Depth=2
	global_load_b64 v[26:27], v1, s[2:3]
	s_add_co_i32 s62, s61, -8
.LBB5_599:                              ;   in Loop: Header=BB5_571 Depth=2
	s_delay_alu instid0(SALU_CYCLE_1)
	s_cmp_gt_u32 s62, 7
	s_cbranch_scc1 .LBB5_604
; %bb.600:                              ;   in Loop: Header=BB5_571 Depth=2
	v_mov_b64_e32 v[28:29], 0
	s_cmp_eq_u32 s62, 0
	s_cbranch_scc1 .LBB5_603
; %bb.601:                              ;   in Loop: Header=BB5_571 Depth=2
	s_wait_xcnt 0x0
	s_mov_b64 s[2:3], 0
	s_mov_b64 s[54:55], 0
.LBB5_602:                              ;   Parent Loop BB5_270 Depth=1
                                        ;     Parent Loop BB5_571 Depth=2
                                        ; =>    This Inner Loop Header: Depth=3
	s_wait_xcnt 0x0
	s_add_nc_u64 s[64:65], s[52:53], s[54:55]
	s_add_nc_u64 s[54:55], s[54:55], 1
	global_load_u8 v0, v1, s[64:65]
	s_cmp_lg_u32 s62, s54
	s_wait_loadcnt 0x0
	v_and_b32_e32 v0, 0xffff, v0
	s_delay_alu instid0(VALU_DEP_1) | instskip(SKIP_1) | instid1(VALU_DEP_1)
	v_lshlrev_b64_e32 v[30:31], s2, v[0:1]
	s_add_nc_u64 s[2:3], s[2:3], 8
	v_or_b32_e32 v28, v30, v28
	s_delay_alu instid0(VALU_DEP_2)
	v_or_b32_e32 v29, v31, v29
	s_cbranch_scc1 .LBB5_602
.LBB5_603:                              ;   in Loop: Header=BB5_571 Depth=2
	s_wait_xcnt 0x0
	s_mov_b64 s[2:3], s[52:53]
	s_mov_b32 s61, 0
	s_cbranch_execz .LBB5_605
	s_branch .LBB5_606
.LBB5_604:                              ;   in Loop: Header=BB5_571 Depth=2
	s_wait_xcnt 0x0
	s_add_nc_u64 s[2:3], s[52:53], 8
	s_mov_b32 s61, 0
.LBB5_605:                              ;   in Loop: Header=BB5_571 Depth=2
	global_load_b64 v[28:29], v1, s[52:53]
	s_add_co_i32 s61, s62, -8
.LBB5_606:                              ;   in Loop: Header=BB5_571 Depth=2
	s_delay_alu instid0(SALU_CYCLE_1)
	s_cmp_gt_u32 s61, 7
	s_cbranch_scc1 .LBB5_611
; %bb.607:                              ;   in Loop: Header=BB5_571 Depth=2
	v_mov_b64_e32 v[30:31], 0
	s_cmp_eq_u32 s61, 0
	s_cbranch_scc1 .LBB5_610
; %bb.608:                              ;   in Loop: Header=BB5_571 Depth=2
	s_wait_xcnt 0x0
	s_mov_b64 s[52:53], 0
	s_mov_b64 s[54:55], 0
.LBB5_609:                              ;   Parent Loop BB5_270 Depth=1
                                        ;     Parent Loop BB5_571 Depth=2
                                        ; =>    This Inner Loop Header: Depth=3
	s_wait_xcnt 0x0
	s_add_nc_u64 s[62:63], s[2:3], s[54:55]
	s_add_nc_u64 s[54:55], s[54:55], 1
	global_load_u8 v0, v1, s[62:63]
	s_cmp_lg_u32 s61, s54
	s_wait_loadcnt 0x0
	v_and_b32_e32 v0, 0xffff, v0
	s_delay_alu instid0(VALU_DEP_1) | instskip(SKIP_1) | instid1(VALU_DEP_1)
	v_lshlrev_b64_e32 v[32:33], s52, v[0:1]
	s_add_nc_u64 s[52:53], s[52:53], 8
	v_or_b32_e32 v30, v32, v30
	s_delay_alu instid0(VALU_DEP_2)
	v_or_b32_e32 v31, v33, v31
	s_cbranch_scc1 .LBB5_609
.LBB5_610:                              ;   in Loop: Header=BB5_571 Depth=2
	s_wait_xcnt 0x0
	s_mov_b64 s[52:53], s[2:3]
	s_mov_b32 s62, 0
	s_cbranch_execz .LBB5_612
	s_branch .LBB5_613
.LBB5_611:                              ;   in Loop: Header=BB5_571 Depth=2
	s_wait_xcnt 0x0
	s_add_nc_u64 s[52:53], s[2:3], 8
                                        ; implicit-def: $vgpr30_vgpr31
	s_mov_b32 s62, 0
.LBB5_612:                              ;   in Loop: Header=BB5_571 Depth=2
	global_load_b64 v[30:31], v1, s[2:3]
	s_add_co_i32 s62, s61, -8
.LBB5_613:                              ;   in Loop: Header=BB5_571 Depth=2
	s_delay_alu instid0(SALU_CYCLE_1)
	s_cmp_gt_u32 s62, 7
	s_cbranch_scc1 .LBB5_618
; %bb.614:                              ;   in Loop: Header=BB5_571 Depth=2
	v_mov_b64_e32 v[32:33], 0
	s_cmp_eq_u32 s62, 0
	s_cbranch_scc1 .LBB5_617
; %bb.615:                              ;   in Loop: Header=BB5_571 Depth=2
	s_wait_xcnt 0x0
	s_mov_b64 s[2:3], 0
	s_mov_b64 s[54:55], s[52:53]
.LBB5_616:                              ;   Parent Loop BB5_270 Depth=1
                                        ;     Parent Loop BB5_571 Depth=2
                                        ; =>    This Inner Loop Header: Depth=3
	global_load_u8 v0, v1, s[54:55]
	s_add_co_i32 s62, s62, -1
	s_wait_xcnt 0x0
	s_add_nc_u64 s[54:55], s[54:55], 1
	s_cmp_lg_u32 s62, 0
	s_wait_loadcnt 0x0
	v_and_b32_e32 v0, 0xffff, v0
	s_delay_alu instid0(VALU_DEP_1) | instskip(SKIP_1) | instid1(VALU_DEP_1)
	v_lshlrev_b64_e32 v[34:35], s2, v[0:1]
	s_add_nc_u64 s[2:3], s[2:3], 8
	v_or_b32_e32 v32, v34, v32
	s_delay_alu instid0(VALU_DEP_2)
	v_or_b32_e32 v33, v35, v33
	s_cbranch_scc1 .LBB5_616
.LBB5_617:                              ;   in Loop: Header=BB5_571 Depth=2
	s_wait_xcnt 0x0
	s_cbranch_execz .LBB5_619
	s_branch .LBB5_620
.LBB5_618:                              ;   in Loop: Header=BB5_571 Depth=2
	s_wait_xcnt 0x0
.LBB5_619:                              ;   in Loop: Header=BB5_571 Depth=2
	global_load_b64 v[32:33], v1, s[52:53]
.LBB5_620:                              ;   in Loop: Header=BB5_571 Depth=2
	v_readfirstlane_b32 s2, v56
	v_mov_b64_e32 v[38:39], 0
	s_delay_alu instid0(VALU_DEP_2)
	v_cmp_eq_u32_e64 s2, s2, v56
	s_wait_xcnt 0x0
	s_and_saveexec_b32 s3, s2
	s_cbranch_execz .LBB5_626
; %bb.621:                              ;   in Loop: Header=BB5_571 Depth=2
	global_load_b64 v[36:37], v1, s[34:35] offset:24 scope:SCOPE_SYS
	s_wait_loadcnt 0x0
	global_inv scope:SCOPE_SYS
	s_clause 0x1
	global_load_b64 v[34:35], v1, s[34:35] offset:40
	global_load_b64 v[38:39], v1, s[34:35]
	s_mov_b32 s52, exec_lo
	s_wait_loadcnt 0x1
	v_and_b32_e32 v34, v34, v36
	v_and_b32_e32 v35, v35, v37
	s_delay_alu instid0(VALU_DEP_1) | instskip(SKIP_1) | instid1(VALU_DEP_1)
	v_mul_u64_e32 v[34:35], 24, v[34:35]
	s_wait_loadcnt 0x0
	v_add_nc_u64_e32 v[34:35], v[38:39], v[34:35]
	global_load_b64 v[34:35], v[34:35], off scope:SCOPE_SYS
	s_wait_xcnt 0x0
	s_wait_loadcnt 0x0
	global_atomic_cmpswap_b64 v[38:39], v1, v[34:37], s[34:35] offset:24 th:TH_ATOMIC_RETURN scope:SCOPE_SYS
	s_wait_loadcnt 0x0
	global_inv scope:SCOPE_SYS
	s_wait_xcnt 0x0
	v_cmpx_ne_u64_e64 v[38:39], v[36:37]
	s_cbranch_execz .LBB5_625
; %bb.622:                              ;   in Loop: Header=BB5_571 Depth=2
	s_mov_b32 s53, 0
.LBB5_623:                              ;   Parent Loop BB5_270 Depth=1
                                        ;     Parent Loop BB5_571 Depth=2
                                        ; =>    This Inner Loop Header: Depth=3
	s_sleep 1
	s_clause 0x1
	global_load_b64 v[34:35], v1, s[34:35] offset:40
	global_load_b64 v[44:45], v1, s[34:35]
	v_mov_b64_e32 v[36:37], v[38:39]
	s_wait_loadcnt 0x1
	s_delay_alu instid0(VALU_DEP_1) | instskip(SKIP_1) | instid1(VALU_DEP_1)
	v_and_b32_e32 v0, v34, v36
	s_wait_loadcnt 0x0
	v_mad_nc_u64_u32 v[38:39], v0, 24, v[44:45]
	s_delay_alu instid0(VALU_DEP_3) | instskip(NEXT) | instid1(VALU_DEP_1)
	v_and_b32_e32 v0, v35, v37
	v_mad_u32 v39, v0, 24, v39
	global_load_b64 v[34:35], v[38:39], off scope:SCOPE_SYS
	s_wait_xcnt 0x0
	s_wait_loadcnt 0x0
	global_atomic_cmpswap_b64 v[38:39], v1, v[34:37], s[34:35] offset:24 th:TH_ATOMIC_RETURN scope:SCOPE_SYS
	s_wait_loadcnt 0x0
	global_inv scope:SCOPE_SYS
	v_cmp_eq_u64_e32 vcc_lo, v[38:39], v[36:37]
	s_or_b32 s53, vcc_lo, s53
	s_wait_xcnt 0x0
	s_and_not1_b32 exec_lo, exec_lo, s53
	s_cbranch_execnz .LBB5_623
; %bb.624:                              ;   in Loop: Header=BB5_571 Depth=2
	s_or_b32 exec_lo, exec_lo, s53
.LBB5_625:                              ;   in Loop: Header=BB5_571 Depth=2
	s_delay_alu instid0(SALU_CYCLE_1)
	s_or_b32 exec_lo, exec_lo, s52
.LBB5_626:                              ;   in Loop: Header=BB5_571 Depth=2
	s_delay_alu instid0(SALU_CYCLE_1)
	s_or_b32 exec_lo, exec_lo, s3
	s_clause 0x1
	global_load_b64 v[44:45], v1, s[34:35] offset:40
	global_load_b128 v[34:37], v1, s[34:35]
	v_readfirstlane_b32 s52, v38
	v_readfirstlane_b32 s53, v39
	s_mov_b32 s3, exec_lo
	s_wait_loadcnt 0x1
	v_and_b32_e32 v44, s52, v44
	v_and_b32_e32 v45, s53, v45
	s_delay_alu instid0(VALU_DEP_1) | instskip(SKIP_1) | instid1(VALU_DEP_1)
	v_mul_u64_e32 v[38:39], 24, v[44:45]
	s_wait_loadcnt 0x0
	v_add_nc_u64_e32 v[38:39], v[34:35], v[38:39]
	s_wait_xcnt 0x0
	s_and_saveexec_b32 s54, s2
	s_cbranch_execz .LBB5_628
; %bb.627:                              ;   in Loop: Header=BB5_571 Depth=2
	v_mov_b32_e32 v0, s3
	global_store_b128 v[38:39], v[0:3], off offset:8
.LBB5_628:                              ;   in Loop: Header=BB5_571 Depth=2
	s_wait_xcnt 0x0
	s_or_b32 exec_lo, exec_lo, s54
	v_cmp_lt_u64_e64 vcc_lo, s[48:49], 57
	v_lshlrev_b64_e32 v[44:45], 12, v[44:45]
	v_and_b32_e32 v5, 0xffffff1f, v18
	s_lshl_b32 s3, s50, 2
	s_delay_alu instid0(SALU_CYCLE_1) | instskip(SKIP_1) | instid1(VALU_DEP_3)
	s_add_co_i32 s3, s3, 28
	v_cndmask_b32_e32 v0, 0, v6, vcc_lo
	v_add_nc_u64_e32 v[36:37], v[36:37], v[44:45]
	s_delay_alu instid0(VALU_DEP_2) | instskip(NEXT) | instid1(VALU_DEP_2)
	v_or_b32_e32 v0, v5, v0
	v_readfirstlane_b32 s54, v36
	s_delay_alu instid0(VALU_DEP_3) | instskip(NEXT) | instid1(VALU_DEP_3)
	v_readfirstlane_b32 s55, v37
	v_and_or_b32 v18, 0x1e0, s3, v0
	s_clause 0x3
	global_store_b128 v42, v[18:21], s[54:55]
	global_store_b128 v42, v[22:25], s[54:55] offset:16
	global_store_b128 v42, v[26:29], s[54:55] offset:32
	;; [unrolled: 1-line block ×3, first 2 shown]
	s_wait_xcnt 0x0
	s_and_saveexec_b32 s3, s2
	s_cbranch_execz .LBB5_636
; %bb.629:                              ;   in Loop: Header=BB5_571 Depth=2
	s_clause 0x1
	global_load_b64 v[26:27], v1, s[34:35] offset:32 scope:SCOPE_SYS
	global_load_b64 v[18:19], v1, s[34:35] offset:40
	s_mov_b32 s54, exec_lo
	v_dual_mov_b32 v24, s52 :: v_dual_mov_b32 v25, s53
	s_wait_loadcnt 0x0
	v_and_b32_e32 v19, s53, v19
	v_and_b32_e32 v18, s52, v18
	s_delay_alu instid0(VALU_DEP_1) | instskip(NEXT) | instid1(VALU_DEP_1)
	v_mul_u64_e32 v[18:19], 24, v[18:19]
	v_add_nc_u64_e32 v[22:23], v[34:35], v[18:19]
	global_store_b64 v[22:23], v[26:27], off
	global_wb scope:SCOPE_SYS
	s_wait_storecnt 0x0
	s_wait_xcnt 0x0
	global_atomic_cmpswap_b64 v[20:21], v1, v[24:27], s[34:35] offset:32 th:TH_ATOMIC_RETURN scope:SCOPE_SYS
	s_wait_loadcnt 0x0
	v_cmpx_ne_u64_e64 v[20:21], v[26:27]
	s_cbranch_execz .LBB5_632
; %bb.630:                              ;   in Loop: Header=BB5_571 Depth=2
	s_mov_b32 s55, 0
.LBB5_631:                              ;   Parent Loop BB5_270 Depth=1
                                        ;     Parent Loop BB5_571 Depth=2
                                        ; =>    This Inner Loop Header: Depth=3
	v_dual_mov_b32 v18, s52 :: v_dual_mov_b32 v19, s53
	s_sleep 1
	global_store_b64 v[22:23], v[20:21], off
	global_wb scope:SCOPE_SYS
	s_wait_storecnt 0x0
	s_wait_xcnt 0x0
	global_atomic_cmpswap_b64 v[18:19], v1, v[18:21], s[34:35] offset:32 th:TH_ATOMIC_RETURN scope:SCOPE_SYS
	s_wait_loadcnt 0x0
	v_cmp_eq_u64_e32 vcc_lo, v[18:19], v[20:21]
	v_mov_b64_e32 v[20:21], v[18:19]
	s_or_b32 s55, vcc_lo, s55
	s_delay_alu instid0(SALU_CYCLE_1)
	s_and_not1_b32 exec_lo, exec_lo, s55
	s_cbranch_execnz .LBB5_631
.LBB5_632:                              ;   in Loop: Header=BB5_571 Depth=2
	s_or_b32 exec_lo, exec_lo, s54
	global_load_b64 v[18:19], v1, s[34:35] offset:16
	s_mov_b32 s55, exec_lo
	s_mov_b32 s54, exec_lo
	v_mbcnt_lo_u32_b32 v0, s55, 0
	s_wait_xcnt 0x0
	s_delay_alu instid0(VALU_DEP_1)
	v_cmpx_eq_u32_e32 0, v0
	s_cbranch_execz .LBB5_634
; %bb.633:                              ;   in Loop: Header=BB5_571 Depth=2
	s_bcnt1_i32_b32 s55, s55
	s_delay_alu instid0(SALU_CYCLE_1)
	v_mov_b32_e32 v0, s55
	global_wb scope:SCOPE_SYS
	s_wait_loadcnt 0x0
	s_wait_storecnt 0x0
	global_atomic_add_u64 v[18:19], v[0:1], off offset:8 scope:SCOPE_SYS
.LBB5_634:                              ;   in Loop: Header=BB5_571 Depth=2
	s_wait_xcnt 0x0
	s_or_b32 exec_lo, exec_lo, s54
	s_wait_loadcnt 0x0
	global_load_b64 v[20:21], v[18:19], off offset:16
	s_wait_loadcnt 0x0
	v_cmp_eq_u64_e32 vcc_lo, 0, v[20:21]
	s_cbranch_vccnz .LBB5_636
; %bb.635:                              ;   in Loop: Header=BB5_571 Depth=2
	global_load_b32 v0, v[18:19], off offset:24
	s_wait_loadcnt 0x0
	v_readfirstlane_b32 s54, v0
	global_wb scope:SCOPE_SYS
	s_wait_storecnt 0x0
	s_wait_xcnt 0x0
	global_store_b64 v[20:21], v[0:1], off scope:SCOPE_SYS
	s_and_b32 m0, s54, 0xffffff
	s_sendmsg sendmsg(MSG_INTERRUPT)
.LBB5_636:                              ;   in Loop: Header=BB5_571 Depth=2
	s_wait_xcnt 0x0
	s_or_b32 exec_lo, exec_lo, s3
	v_mov_b32_e32 v43, v1
	s_delay_alu instid0(VALU_DEP_1)
	v_add_nc_u64_e32 v[18:19], v[36:37], v[42:43]
	s_branch .LBB5_640
.LBB5_637:                              ;   in Loop: Header=BB5_640 Depth=3
	s_wait_xcnt 0x0
	s_or_b32 exec_lo, exec_lo, s3
	s_delay_alu instid0(VALU_DEP_1)
	v_readfirstlane_b32 s3, v0
	s_cmp_eq_u32 s3, 0
	s_cbranch_scc1 .LBB5_639
; %bb.638:                              ;   in Loop: Header=BB5_640 Depth=3
	s_sleep 1
	s_cbranch_execnz .LBB5_640
	s_branch .LBB5_642
.LBB5_639:                              ;   in Loop: Header=BB5_571 Depth=2
	s_branch .LBB5_642
.LBB5_640:                              ;   Parent Loop BB5_270 Depth=1
                                        ;     Parent Loop BB5_571 Depth=2
                                        ; =>    This Inner Loop Header: Depth=3
	v_mov_b32_e32 v0, 1
	s_and_saveexec_b32 s3, s2
	s_cbranch_execz .LBB5_637
; %bb.641:                              ;   in Loop: Header=BB5_640 Depth=3
	global_load_b32 v0, v[38:39], off offset:20 scope:SCOPE_SYS
	s_wait_loadcnt 0x0
	global_inv scope:SCOPE_SYS
	v_and_b32_e32 v0, 1, v0
	s_branch .LBB5_637
.LBB5_642:                              ;   in Loop: Header=BB5_571 Depth=2
	global_load_b64 v[18:19], v[18:19], off
	s_wait_xcnt 0x0
	s_and_saveexec_b32 s54, s2
	s_cbranch_execz .LBB5_570
; %bb.643:                              ;   in Loop: Header=BB5_571 Depth=2
	s_clause 0x2
	global_load_b64 v[20:21], v1, s[34:35] offset:40
	global_load_b64 v[28:29], v1, s[34:35] offset:24 scope:SCOPE_SYS
	global_load_b64 v[22:23], v1, s[34:35]
	s_wait_loadcnt 0x2
	v_readfirstlane_b32 s62, v20
	v_readfirstlane_b32 s63, v21
	s_add_nc_u64 s[2:3], s[62:63], 1
	s_delay_alu instid0(SALU_CYCLE_1) | instskip(NEXT) | instid1(SALU_CYCLE_1)
	s_add_nc_u64 s[52:53], s[2:3], s[52:53]
	s_cmp_eq_u64 s[52:53], 0
	s_cselect_b32 s3, s3, s53
	s_cselect_b32 s2, s2, s52
	s_delay_alu instid0(SALU_CYCLE_1) | instskip(SKIP_1) | instid1(SALU_CYCLE_1)
	v_dual_mov_b32 v27, s3 :: v_dual_mov_b32 v26, s2
	s_and_b64 s[52:53], s[2:3], s[62:63]
	s_mul_u64 s[52:53], s[52:53], 24
	s_wait_loadcnt 0x0
	v_add_nc_u64_e32 v[24:25], s[52:53], v[22:23]
	global_store_b64 v[24:25], v[28:29], off
	global_wb scope:SCOPE_SYS
	s_wait_storecnt 0x0
	s_wait_xcnt 0x0
	global_atomic_cmpswap_b64 v[22:23], v1, v[26:29], s[34:35] offset:24 th:TH_ATOMIC_RETURN scope:SCOPE_SYS
	s_wait_loadcnt 0x0
	v_cmp_ne_u64_e32 vcc_lo, v[22:23], v[28:29]
	s_and_b32 exec_lo, exec_lo, vcc_lo
	s_cbranch_execz .LBB5_570
; %bb.644:                              ;   in Loop: Header=BB5_571 Depth=2
	s_mov_b32 s52, 0
.LBB5_645:                              ;   Parent Loop BB5_270 Depth=1
                                        ;     Parent Loop BB5_571 Depth=2
                                        ; =>    This Inner Loop Header: Depth=3
	v_dual_mov_b32 v20, s2 :: v_dual_mov_b32 v21, s3
	s_sleep 1
	global_store_b64 v[24:25], v[22:23], off
	global_wb scope:SCOPE_SYS
	s_wait_storecnt 0x0
	s_wait_xcnt 0x0
	global_atomic_cmpswap_b64 v[20:21], v1, v[20:23], s[34:35] offset:24 th:TH_ATOMIC_RETURN scope:SCOPE_SYS
	s_wait_loadcnt 0x0
	v_cmp_eq_u64_e32 vcc_lo, v[20:21], v[22:23]
	v_mov_b64_e32 v[22:23], v[20:21]
	s_or_b32 s52, vcc_lo, s52
	s_delay_alu instid0(SALU_CYCLE_1)
	s_and_not1_b32 exec_lo, exec_lo, s52
	s_cbranch_execnz .LBB5_645
	s_branch .LBB5_570
.LBB5_646:                              ;   in Loop: Header=BB5_270 Depth=1
	s_branch .LBB5_675
.LBB5_647:                              ;   in Loop: Header=BB5_270 Depth=1
                                        ; implicit-def: $vgpr18_vgpr19
	s_cbranch_execz .LBB5_675
; %bb.648:                              ;   in Loop: Header=BB5_270 Depth=1
	v_readfirstlane_b32 s2, v56
	v_mov_b64_e32 v[6:7], 0
	s_delay_alu instid0(VALU_DEP_2)
	v_cmp_eq_u32_e64 s2, s2, v56
	s_and_saveexec_b32 s3, s2
	s_cbranch_execz .LBB5_654
; %bb.649:                              ;   in Loop: Header=BB5_270 Depth=1
	s_wait_loadcnt 0x0
	global_load_b64 v[20:21], v1, s[34:35] offset:24 scope:SCOPE_SYS
	s_wait_loadcnt 0x0
	global_inv scope:SCOPE_SYS
	s_clause 0x1
	global_load_b64 v[6:7], v1, s[34:35] offset:40
	global_load_b64 v[18:19], v1, s[34:35]
	s_mov_b32 s46, exec_lo
	s_wait_loadcnt 0x1
	v_and_b32_e32 v6, v6, v20
	v_and_b32_e32 v7, v7, v21
	s_delay_alu instid0(VALU_DEP_1) | instskip(SKIP_1) | instid1(VALU_DEP_1)
	v_mul_u64_e32 v[6:7], 24, v[6:7]
	s_wait_loadcnt 0x0
	v_add_nc_u64_e32 v[6:7], v[18:19], v[6:7]
	global_load_b64 v[18:19], v[6:7], off scope:SCOPE_SYS
	s_wait_xcnt 0x0
	s_wait_loadcnt 0x0
	global_atomic_cmpswap_b64 v[6:7], v1, v[18:21], s[34:35] offset:24 th:TH_ATOMIC_RETURN scope:SCOPE_SYS
	s_wait_loadcnt 0x0
	global_inv scope:SCOPE_SYS
	s_wait_xcnt 0x0
	v_cmpx_ne_u64_e64 v[6:7], v[20:21]
	s_cbranch_execz .LBB5_653
; %bb.650:                              ;   in Loop: Header=BB5_270 Depth=1
	s_mov_b32 s47, 0
.LBB5_651:                              ;   Parent Loop BB5_270 Depth=1
                                        ; =>  This Inner Loop Header: Depth=2
	s_sleep 1
	s_clause 0x1
	global_load_b64 v[18:19], v1, s[34:35] offset:40
	global_load_b64 v[22:23], v1, s[34:35]
	v_mov_b64_e32 v[20:21], v[6:7]
	s_wait_loadcnt 0x1
	s_delay_alu instid0(VALU_DEP_1) | instskip(SKIP_1) | instid1(VALU_DEP_1)
	v_and_b32_e32 v0, v18, v20
	s_wait_loadcnt 0x0
	v_mad_nc_u64_u32 v[6:7], v0, 24, v[22:23]
	s_delay_alu instid0(VALU_DEP_3) | instskip(NEXT) | instid1(VALU_DEP_1)
	v_and_b32_e32 v0, v19, v21
	v_mad_u32 v7, v0, 24, v7
	global_load_b64 v[18:19], v[6:7], off scope:SCOPE_SYS
	s_wait_xcnt 0x0
	s_wait_loadcnt 0x0
	global_atomic_cmpswap_b64 v[6:7], v1, v[18:21], s[34:35] offset:24 th:TH_ATOMIC_RETURN scope:SCOPE_SYS
	s_wait_loadcnt 0x0
	global_inv scope:SCOPE_SYS
	v_cmp_eq_u64_e32 vcc_lo, v[6:7], v[20:21]
	s_or_b32 s47, vcc_lo, s47
	s_wait_xcnt 0x0
	s_and_not1_b32 exec_lo, exec_lo, s47
	s_cbranch_execnz .LBB5_651
; %bb.652:                              ;   in Loop: Header=BB5_270 Depth=1
	s_or_b32 exec_lo, exec_lo, s47
.LBB5_653:                              ;   in Loop: Header=BB5_270 Depth=1
	s_delay_alu instid0(SALU_CYCLE_1)
	s_or_b32 exec_lo, exec_lo, s46
.LBB5_654:                              ;   in Loop: Header=BB5_270 Depth=1
	s_delay_alu instid0(SALU_CYCLE_1)
	s_or_b32 exec_lo, exec_lo, s3
	s_wait_loadcnt 0x0
	s_clause 0x1
	global_load_b64 v[18:19], v1, s[34:35] offset:40
	global_load_b128 v[20:23], v1, s[34:35]
	v_readfirstlane_b32 s46, v6
	v_readfirstlane_b32 s47, v7
	s_mov_b32 s3, exec_lo
	s_wait_loadcnt 0x1
	v_and_b32_e32 v18, s46, v18
	v_and_b32_e32 v19, s47, v19
	s_delay_alu instid0(VALU_DEP_1) | instskip(SKIP_1) | instid1(VALU_DEP_1)
	v_mul_u64_e32 v[6:7], 24, v[18:19]
	s_wait_loadcnt 0x0
	v_add_nc_u64_e32 v[6:7], v[20:21], v[6:7]
	s_wait_xcnt 0x0
	s_and_saveexec_b32 s48, s2
	s_cbranch_execz .LBB5_656
; %bb.655:                              ;   in Loop: Header=BB5_270 Depth=1
	v_mov_b32_e32 v0, s3
	global_store_b128 v[6:7], v[0:3], off offset:8
.LBB5_656:                              ;   in Loop: Header=BB5_270 Depth=1
	s_wait_xcnt 0x0
	s_or_b32 exec_lo, exec_lo, s48
	v_lshlrev_b64_e32 v[18:19], 12, v[18:19]
	v_mov_b64_e32 v[26:27], s[6:7]
	v_mov_b64_e32 v[24:25], s[4:5]
	v_and_or_b32 v16, 0xffffff1f, v16, 32
	s_delay_alu instid0(VALU_DEP_4) | instskip(SKIP_1) | instid1(VALU_DEP_2)
	v_add_nc_u64_e32 v[22:23], v[22:23], v[18:19]
	v_dual_mov_b32 v18, v1 :: v_dual_mov_b32 v19, v1
	v_readfirstlane_b32 s48, v22
	s_delay_alu instid0(VALU_DEP_3)
	v_readfirstlane_b32 s49, v23
	s_clause 0x3
	global_store_b128 v42, v[16:19], s[48:49]
	global_store_b128 v42, v[24:27], s[48:49] offset:16
	global_store_b128 v42, v[24:27], s[48:49] offset:32
	;; [unrolled: 1-line block ×3, first 2 shown]
	s_wait_xcnt 0x0
	s_and_saveexec_b32 s3, s2
	s_cbranch_execz .LBB5_664
; %bb.657:                              ;   in Loop: Header=BB5_270 Depth=1
	s_clause 0x1
	global_load_b64 v[26:27], v1, s[34:35] offset:32 scope:SCOPE_SYS
	global_load_b64 v[16:17], v1, s[34:35] offset:40
	s_mov_b32 s48, exec_lo
	v_dual_mov_b32 v24, s46 :: v_dual_mov_b32 v25, s47
	s_wait_loadcnt 0x0
	v_and_b32_e32 v17, s47, v17
	v_and_b32_e32 v16, s46, v16
	s_delay_alu instid0(VALU_DEP_1) | instskip(NEXT) | instid1(VALU_DEP_1)
	v_mul_u64_e32 v[16:17], 24, v[16:17]
	v_add_nc_u64_e32 v[20:21], v[20:21], v[16:17]
	global_store_b64 v[20:21], v[26:27], off
	global_wb scope:SCOPE_SYS
	s_wait_storecnt 0x0
	s_wait_xcnt 0x0
	global_atomic_cmpswap_b64 v[18:19], v1, v[24:27], s[34:35] offset:32 th:TH_ATOMIC_RETURN scope:SCOPE_SYS
	s_wait_loadcnt 0x0
	v_cmpx_ne_u64_e64 v[18:19], v[26:27]
	s_cbranch_execz .LBB5_660
; %bb.658:                              ;   in Loop: Header=BB5_270 Depth=1
	s_mov_b32 s49, 0
.LBB5_659:                              ;   Parent Loop BB5_270 Depth=1
                                        ; =>  This Inner Loop Header: Depth=2
	v_dual_mov_b32 v16, s46 :: v_dual_mov_b32 v17, s47
	s_sleep 1
	global_store_b64 v[20:21], v[18:19], off
	global_wb scope:SCOPE_SYS
	s_wait_storecnt 0x0
	s_wait_xcnt 0x0
	global_atomic_cmpswap_b64 v[16:17], v1, v[16:19], s[34:35] offset:32 th:TH_ATOMIC_RETURN scope:SCOPE_SYS
	s_wait_loadcnt 0x0
	v_cmp_eq_u64_e32 vcc_lo, v[16:17], v[18:19]
	v_mov_b64_e32 v[18:19], v[16:17]
	s_or_b32 s49, vcc_lo, s49
	s_delay_alu instid0(SALU_CYCLE_1)
	s_and_not1_b32 exec_lo, exec_lo, s49
	s_cbranch_execnz .LBB5_659
.LBB5_660:                              ;   in Loop: Header=BB5_270 Depth=1
	s_or_b32 exec_lo, exec_lo, s48
	global_load_b64 v[16:17], v1, s[34:35] offset:16
	s_mov_b32 s49, exec_lo
	s_mov_b32 s48, exec_lo
	v_mbcnt_lo_u32_b32 v0, s49, 0
	s_wait_xcnt 0x0
	s_delay_alu instid0(VALU_DEP_1)
	v_cmpx_eq_u32_e32 0, v0
	s_cbranch_execz .LBB5_662
; %bb.661:                              ;   in Loop: Header=BB5_270 Depth=1
	s_bcnt1_i32_b32 s49, s49
	s_delay_alu instid0(SALU_CYCLE_1)
	v_mov_b32_e32 v0, s49
	global_wb scope:SCOPE_SYS
	s_wait_loadcnt 0x0
	s_wait_storecnt 0x0
	global_atomic_add_u64 v[16:17], v[0:1], off offset:8 scope:SCOPE_SYS
.LBB5_662:                              ;   in Loop: Header=BB5_270 Depth=1
	s_wait_xcnt 0x0
	s_or_b32 exec_lo, exec_lo, s48
	s_wait_loadcnt 0x0
	global_load_b64 v[18:19], v[16:17], off offset:16
	s_wait_loadcnt 0x0
	v_cmp_eq_u64_e32 vcc_lo, 0, v[18:19]
	s_cbranch_vccnz .LBB5_664
; %bb.663:                              ;   in Loop: Header=BB5_270 Depth=1
	global_load_b32 v0, v[16:17], off offset:24
	s_wait_loadcnt 0x0
	v_readfirstlane_b32 s48, v0
	global_wb scope:SCOPE_SYS
	s_wait_storecnt 0x0
	s_wait_xcnt 0x0
	global_store_b64 v[18:19], v[0:1], off scope:SCOPE_SYS
	s_and_b32 m0, s48, 0xffffff
	s_sendmsg sendmsg(MSG_INTERRUPT)
.LBB5_664:                              ;   in Loop: Header=BB5_270 Depth=1
	s_wait_xcnt 0x0
	s_or_b32 exec_lo, exec_lo, s3
	v_mov_b32_e32 v43, v1
	s_delay_alu instid0(VALU_DEP_1)
	v_add_nc_u64_e32 v[16:17], v[22:23], v[42:43]
	s_branch .LBB5_668
.LBB5_665:                              ;   in Loop: Header=BB5_668 Depth=2
	s_wait_xcnt 0x0
	s_or_b32 exec_lo, exec_lo, s3
	s_delay_alu instid0(VALU_DEP_1)
	v_readfirstlane_b32 s3, v0
	s_cmp_eq_u32 s3, 0
	s_cbranch_scc1 .LBB5_667
; %bb.666:                              ;   in Loop: Header=BB5_668 Depth=2
	s_sleep 1
	s_cbranch_execnz .LBB5_668
	s_branch .LBB5_670
.LBB5_667:                              ;   in Loop: Header=BB5_270 Depth=1
	s_branch .LBB5_670
.LBB5_668:                              ;   Parent Loop BB5_270 Depth=1
                                        ; =>  This Inner Loop Header: Depth=2
	v_mov_b32_e32 v0, 1
	s_and_saveexec_b32 s3, s2
	s_cbranch_execz .LBB5_665
; %bb.669:                              ;   in Loop: Header=BB5_668 Depth=2
	global_load_b32 v0, v[6:7], off offset:20 scope:SCOPE_SYS
	s_wait_loadcnt 0x0
	global_inv scope:SCOPE_SYS
	v_and_b32_e32 v0, 1, v0
	s_branch .LBB5_665
.LBB5_670:                              ;   in Loop: Header=BB5_270 Depth=1
	global_load_b64 v[18:19], v[16:17], off
	s_wait_xcnt 0x0
	s_and_saveexec_b32 s48, s2
	s_cbranch_execz .LBB5_674
; %bb.671:                              ;   in Loop: Header=BB5_270 Depth=1
	s_clause 0x2
	global_load_b64 v[6:7], v1, s[34:35] offset:40
	global_load_b64 v[24:25], v1, s[34:35] offset:24 scope:SCOPE_SYS
	global_load_b64 v[16:17], v1, s[34:35]
	s_wait_loadcnt 0x2
	v_readfirstlane_b32 s50, v6
	v_readfirstlane_b32 s51, v7
	s_add_nc_u64 s[2:3], s[50:51], 1
	s_delay_alu instid0(SALU_CYCLE_1) | instskip(NEXT) | instid1(SALU_CYCLE_1)
	s_add_nc_u64 s[46:47], s[2:3], s[46:47]
	s_cmp_eq_u64 s[46:47], 0
	s_cselect_b32 s3, s3, s47
	s_cselect_b32 s2, s2, s46
	s_delay_alu instid0(SALU_CYCLE_1) | instskip(SKIP_1) | instid1(SALU_CYCLE_1)
	v_dual_mov_b32 v23, s3 :: v_dual_mov_b32 v22, s2
	s_and_b64 s[46:47], s[2:3], s[50:51]
	s_mul_u64 s[46:47], s[46:47], 24
	s_wait_loadcnt 0x0
	v_add_nc_u64_e32 v[6:7], s[46:47], v[16:17]
	global_store_b64 v[6:7], v[24:25], off
	global_wb scope:SCOPE_SYS
	s_wait_storecnt 0x0
	s_wait_xcnt 0x0
	global_atomic_cmpswap_b64 v[22:23], v1, v[22:25], s[34:35] offset:24 th:TH_ATOMIC_RETURN scope:SCOPE_SYS
	s_wait_loadcnt 0x0
	v_cmp_ne_u64_e32 vcc_lo, v[22:23], v[24:25]
	s_and_b32 exec_lo, exec_lo, vcc_lo
	s_cbranch_execz .LBB5_674
; %bb.672:                              ;   in Loop: Header=BB5_270 Depth=1
	s_mov_b32 s46, 0
.LBB5_673:                              ;   Parent Loop BB5_270 Depth=1
                                        ; =>  This Inner Loop Header: Depth=2
	v_dual_mov_b32 v20, s2 :: v_dual_mov_b32 v21, s3
	s_sleep 1
	global_store_b64 v[6:7], v[22:23], off
	global_wb scope:SCOPE_SYS
	s_wait_storecnt 0x0
	s_wait_xcnt 0x0
	global_atomic_cmpswap_b64 v[16:17], v1, v[20:23], s[34:35] offset:24 th:TH_ATOMIC_RETURN scope:SCOPE_SYS
	s_wait_loadcnt 0x0
	v_cmp_eq_u64_e32 vcc_lo, v[16:17], v[22:23]
	v_mov_b64_e32 v[22:23], v[16:17]
	s_or_b32 s46, vcc_lo, s46
	s_delay_alu instid0(SALU_CYCLE_1)
	s_and_not1_b32 exec_lo, exec_lo, s46
	s_cbranch_execnz .LBB5_673
.LBB5_674:                              ;   in Loop: Header=BB5_270 Depth=1
	s_or_b32 exec_lo, exec_lo, s48
.LBB5_675:                              ;   in Loop: Header=BB5_270 Depth=1
	v_readfirstlane_b32 s2, v56
	v_mov_b64_e32 v[6:7], 0
	s_delay_alu instid0(VALU_DEP_2)
	v_cmp_eq_u32_e64 s2, s2, v56
	s_and_saveexec_b32 s3, s2
	s_cbranch_execz .LBB5_681
; %bb.676:                              ;   in Loop: Header=BB5_270 Depth=1
	global_load_b64 v[22:23], v1, s[34:35] offset:24 scope:SCOPE_SYS
	s_wait_loadcnt 0x0
	global_inv scope:SCOPE_SYS
	s_clause 0x1
	global_load_b64 v[6:7], v1, s[34:35] offset:40
	global_load_b64 v[16:17], v1, s[34:35]
	s_mov_b32 s46, exec_lo
	s_wait_loadcnt 0x1
	v_and_b32_e32 v6, v6, v22
	v_and_b32_e32 v7, v7, v23
	s_delay_alu instid0(VALU_DEP_1) | instskip(SKIP_1) | instid1(VALU_DEP_1)
	v_mul_u64_e32 v[6:7], 24, v[6:7]
	s_wait_loadcnt 0x0
	v_add_nc_u64_e32 v[6:7], v[16:17], v[6:7]
	global_load_b64 v[20:21], v[6:7], off scope:SCOPE_SYS
	s_wait_xcnt 0x0
	s_wait_loadcnt 0x0
	global_atomic_cmpswap_b64 v[6:7], v1, v[20:23], s[34:35] offset:24 th:TH_ATOMIC_RETURN scope:SCOPE_SYS
	s_wait_loadcnt 0x0
	global_inv scope:SCOPE_SYS
	s_wait_xcnt 0x0
	v_cmpx_ne_u64_e64 v[6:7], v[22:23]
	s_cbranch_execz .LBB5_680
; %bb.677:                              ;   in Loop: Header=BB5_270 Depth=1
	s_mov_b32 s47, 0
.LBB5_678:                              ;   Parent Loop BB5_270 Depth=1
                                        ; =>  This Inner Loop Header: Depth=2
	s_sleep 1
	s_clause 0x1
	global_load_b64 v[16:17], v1, s[34:35] offset:40
	global_load_b64 v[20:21], v1, s[34:35]
	v_mov_b64_e32 v[22:23], v[6:7]
	s_wait_loadcnt 0x1
	s_delay_alu instid0(VALU_DEP_1) | instskip(SKIP_1) | instid1(VALU_DEP_1)
	v_and_b32_e32 v0, v16, v22
	s_wait_loadcnt 0x0
	v_mad_nc_u64_u32 v[6:7], v0, 24, v[20:21]
	s_delay_alu instid0(VALU_DEP_3) | instskip(NEXT) | instid1(VALU_DEP_1)
	v_and_b32_e32 v0, v17, v23
	v_mad_u32 v7, v0, 24, v7
	global_load_b64 v[20:21], v[6:7], off scope:SCOPE_SYS
	s_wait_xcnt 0x0
	s_wait_loadcnt 0x0
	global_atomic_cmpswap_b64 v[6:7], v1, v[20:23], s[34:35] offset:24 th:TH_ATOMIC_RETURN scope:SCOPE_SYS
	s_wait_loadcnt 0x0
	global_inv scope:SCOPE_SYS
	v_cmp_eq_u64_e32 vcc_lo, v[6:7], v[22:23]
	s_or_b32 s47, vcc_lo, s47
	s_wait_xcnt 0x0
	s_and_not1_b32 exec_lo, exec_lo, s47
	s_cbranch_execnz .LBB5_678
; %bb.679:                              ;   in Loop: Header=BB5_270 Depth=1
	s_or_b32 exec_lo, exec_lo, s47
.LBB5_680:                              ;   in Loop: Header=BB5_270 Depth=1
	s_delay_alu instid0(SALU_CYCLE_1)
	s_or_b32 exec_lo, exec_lo, s46
.LBB5_681:                              ;   in Loop: Header=BB5_270 Depth=1
	s_delay_alu instid0(SALU_CYCLE_1)
	s_or_b32 exec_lo, exec_lo, s3
	s_wait_loadcnt 0x0
	s_clause 0x1
	global_load_b64 v[16:17], v1, s[34:35] offset:40
	global_load_b128 v[22:25], v1, s[34:35]
	v_readfirstlane_b32 s46, v6
	v_readfirstlane_b32 s47, v7
	s_mov_b32 s3, exec_lo
	s_wait_loadcnt 0x1
	v_and_b32_e32 v16, s46, v16
	v_and_b32_e32 v17, s47, v17
	s_delay_alu instid0(VALU_DEP_1) | instskip(SKIP_1) | instid1(VALU_DEP_1)
	v_mul_u64_e32 v[6:7], 24, v[16:17]
	s_wait_loadcnt 0x0
	v_add_nc_u64_e32 v[6:7], v[22:23], v[6:7]
	s_wait_xcnt 0x0
	s_and_saveexec_b32 s48, s2
	s_cbranch_execz .LBB5_683
; %bb.682:                              ;   in Loop: Header=BB5_270 Depth=1
	v_mov_b32_e32 v0, s3
	global_store_b128 v[6:7], v[0:3], off offset:8
.LBB5_683:                              ;   in Loop: Header=BB5_270 Depth=1
	s_wait_xcnt 0x0
	s_or_b32 exec_lo, exec_lo, s48
	v_lshlrev_b64_e32 v[16:17], 12, v[16:17]
	s_ashr_i32 s3, s60, 1
	v_and_or_b32 v18, 0xffffff1d, v18, 34
	v_dual_mov_b32 v21, v1 :: v_dual_mov_b32 v20, s3
	s_delay_alu instid0(VALU_DEP_3) | instskip(SKIP_2) | instid1(VALU_DEP_3)
	v_add_nc_u64_e32 v[16:17], v[24:25], v[16:17]
	v_mov_b64_e32 v[26:27], s[6:7]
	v_mov_b64_e32 v[24:25], s[4:5]
	v_readfirstlane_b32 s48, v16
	s_delay_alu instid0(VALU_DEP_4)
	v_readfirstlane_b32 s49, v17
	s_clause 0x3
	global_store_b128 v42, v[18:21], s[48:49]
	global_store_b128 v42, v[24:27], s[48:49] offset:16
	global_store_b128 v42, v[24:27], s[48:49] offset:32
	;; [unrolled: 1-line block ×3, first 2 shown]
	s_wait_xcnt 0x0
	s_and_saveexec_b32 s3, s2
	s_cbranch_execz .LBB5_691
; %bb.684:                              ;   in Loop: Header=BB5_270 Depth=1
	s_clause 0x1
	global_load_b64 v[24:25], v1, s[34:35] offset:32 scope:SCOPE_SYS
	global_load_b64 v[16:17], v1, s[34:35] offset:40
	s_mov_b32 s48, exec_lo
	s_wait_loadcnt 0x0
	v_and_b32_e32 v16, s46, v16
	v_and_b32_e32 v17, s47, v17
	s_delay_alu instid0(VALU_DEP_1) | instskip(NEXT) | instid1(VALU_DEP_1)
	v_mul_u64_e32 v[16:17], 24, v[16:17]
	v_add_nc_u64_e32 v[20:21], v[22:23], v[16:17]
	v_dual_mov_b32 v22, s46 :: v_dual_mov_b32 v23, s47
	global_store_b64 v[20:21], v[24:25], off
	global_wb scope:SCOPE_SYS
	s_wait_storecnt 0x0
	s_wait_xcnt 0x0
	global_atomic_cmpswap_b64 v[18:19], v1, v[22:25], s[34:35] offset:32 th:TH_ATOMIC_RETURN scope:SCOPE_SYS
	s_wait_loadcnt 0x0
	v_cmpx_ne_u64_e64 v[18:19], v[24:25]
	s_cbranch_execz .LBB5_687
; %bb.685:                              ;   in Loop: Header=BB5_270 Depth=1
	s_mov_b32 s49, 0
.LBB5_686:                              ;   Parent Loop BB5_270 Depth=1
                                        ; =>  This Inner Loop Header: Depth=2
	v_dual_mov_b32 v16, s46 :: v_dual_mov_b32 v17, s47
	s_sleep 1
	global_store_b64 v[20:21], v[18:19], off
	global_wb scope:SCOPE_SYS
	s_wait_storecnt 0x0
	s_wait_xcnt 0x0
	global_atomic_cmpswap_b64 v[16:17], v1, v[16:19], s[34:35] offset:32 th:TH_ATOMIC_RETURN scope:SCOPE_SYS
	s_wait_loadcnt 0x0
	v_cmp_eq_u64_e32 vcc_lo, v[16:17], v[18:19]
	v_mov_b64_e32 v[18:19], v[16:17]
	s_or_b32 s49, vcc_lo, s49
	s_delay_alu instid0(SALU_CYCLE_1)
	s_and_not1_b32 exec_lo, exec_lo, s49
	s_cbranch_execnz .LBB5_686
.LBB5_687:                              ;   in Loop: Header=BB5_270 Depth=1
	s_or_b32 exec_lo, exec_lo, s48
	global_load_b64 v[16:17], v1, s[34:35] offset:16
	s_mov_b32 s49, exec_lo
	s_mov_b32 s48, exec_lo
	v_mbcnt_lo_u32_b32 v0, s49, 0
	s_wait_xcnt 0x0
	s_delay_alu instid0(VALU_DEP_1)
	v_cmpx_eq_u32_e32 0, v0
	s_cbranch_execz .LBB5_689
; %bb.688:                              ;   in Loop: Header=BB5_270 Depth=1
	s_bcnt1_i32_b32 s49, s49
	s_delay_alu instid0(SALU_CYCLE_1)
	v_mov_b32_e32 v0, s49
	global_wb scope:SCOPE_SYS
	s_wait_loadcnt 0x0
	s_wait_storecnt 0x0
	global_atomic_add_u64 v[16:17], v[0:1], off offset:8 scope:SCOPE_SYS
.LBB5_689:                              ;   in Loop: Header=BB5_270 Depth=1
	s_wait_xcnt 0x0
	s_or_b32 exec_lo, exec_lo, s48
	s_wait_loadcnt 0x0
	global_load_b64 v[18:19], v[16:17], off offset:16
	s_wait_loadcnt 0x0
	v_cmp_eq_u64_e32 vcc_lo, 0, v[18:19]
	s_cbranch_vccnz .LBB5_691
; %bb.690:                              ;   in Loop: Header=BB5_270 Depth=1
	global_load_b32 v0, v[16:17], off offset:24
	s_wait_loadcnt 0x0
	v_readfirstlane_b32 s48, v0
	global_wb scope:SCOPE_SYS
	s_wait_storecnt 0x0
	s_wait_xcnt 0x0
	global_store_b64 v[18:19], v[0:1], off scope:SCOPE_SYS
	s_and_b32 m0, s48, 0xffffff
	s_sendmsg sendmsg(MSG_INTERRUPT)
.LBB5_691:                              ;   in Loop: Header=BB5_270 Depth=1
	s_wait_xcnt 0x0
	s_or_b32 exec_lo, exec_lo, s3
	s_branch .LBB5_695
.LBB5_692:                              ;   in Loop: Header=BB5_695 Depth=2
	s_wait_xcnt 0x0
	s_or_b32 exec_lo, exec_lo, s3
	s_delay_alu instid0(VALU_DEP_1)
	v_readfirstlane_b32 s3, v0
	s_cmp_eq_u32 s3, 0
	s_cbranch_scc1 .LBB5_694
; %bb.693:                              ;   in Loop: Header=BB5_695 Depth=2
	s_sleep 1
	s_cbranch_execnz .LBB5_695
	s_branch .LBB5_697
.LBB5_694:                              ;   in Loop: Header=BB5_270 Depth=1
	s_branch .LBB5_697
.LBB5_695:                              ;   Parent Loop BB5_270 Depth=1
                                        ; =>  This Inner Loop Header: Depth=2
	v_mov_b32_e32 v0, 1
	s_and_saveexec_b32 s3, s2
	s_cbranch_execz .LBB5_692
; %bb.696:                              ;   in Loop: Header=BB5_695 Depth=2
	global_load_b32 v0, v[6:7], off offset:20 scope:SCOPE_SYS
	s_wait_loadcnt 0x0
	global_inv scope:SCOPE_SYS
	v_and_b32_e32 v0, 1, v0
	s_branch .LBB5_692
.LBB5_697:                              ;   in Loop: Header=BB5_270 Depth=1
	s_and_saveexec_b32 s48, s2
	s_cbranch_execz .LBB5_701
; %bb.698:                              ;   in Loop: Header=BB5_270 Depth=1
	s_clause 0x2
	global_load_b64 v[6:7], v1, s[34:35] offset:40
	global_load_b64 v[20:21], v1, s[34:35] offset:24 scope:SCOPE_SYS
	global_load_b64 v[16:17], v1, s[34:35]
	s_wait_loadcnt 0x2
	v_readfirstlane_b32 s50, v6
	v_readfirstlane_b32 s51, v7
	s_add_nc_u64 s[2:3], s[50:51], 1
	s_delay_alu instid0(SALU_CYCLE_1) | instskip(NEXT) | instid1(SALU_CYCLE_1)
	s_add_nc_u64 s[46:47], s[2:3], s[46:47]
	s_cmp_eq_u64 s[46:47], 0
	s_cselect_b32 s3, s3, s47
	s_cselect_b32 s2, s2, s46
	s_delay_alu instid0(SALU_CYCLE_1) | instskip(SKIP_1) | instid1(SALU_CYCLE_1)
	v_dual_mov_b32 v19, s3 :: v_dual_mov_b32 v18, s2
	s_and_b64 s[46:47], s[2:3], s[50:51]
	s_mul_u64 s[46:47], s[46:47], 24
	s_wait_loadcnt 0x0
	v_add_nc_u64_e32 v[6:7], s[46:47], v[16:17]
	global_store_b64 v[6:7], v[20:21], off
	global_wb scope:SCOPE_SYS
	s_wait_storecnt 0x0
	s_wait_xcnt 0x0
	global_atomic_cmpswap_b64 v[18:19], v1, v[18:21], s[34:35] offset:24 th:TH_ATOMIC_RETURN scope:SCOPE_SYS
	s_wait_loadcnt 0x0
	v_cmp_ne_u64_e32 vcc_lo, v[18:19], v[20:21]
	s_and_b32 exec_lo, exec_lo, vcc_lo
	s_cbranch_execz .LBB5_701
; %bb.699:                              ;   in Loop: Header=BB5_270 Depth=1
	s_mov_b32 s46, 0
.LBB5_700:                              ;   Parent Loop BB5_270 Depth=1
                                        ; =>  This Inner Loop Header: Depth=2
	v_dual_mov_b32 v16, s2 :: v_dual_mov_b32 v17, s3
	s_sleep 1
	global_store_b64 v[6:7], v[18:19], off
	global_wb scope:SCOPE_SYS
	s_wait_storecnt 0x0
	s_wait_xcnt 0x0
	global_atomic_cmpswap_b64 v[16:17], v1, v[16:19], s[34:35] offset:24 th:TH_ATOMIC_RETURN scope:SCOPE_SYS
	s_wait_loadcnt 0x0
	v_cmp_eq_u64_e32 vcc_lo, v[16:17], v[18:19]
	v_mov_b64_e32 v[18:19], v[16:17]
	s_or_b32 s46, vcc_lo, s46
	s_delay_alu instid0(SALU_CYCLE_1)
	s_and_not1_b32 exec_lo, exec_lo, s46
	s_cbranch_execnz .LBB5_700
.LBB5_701:                              ;   in Loop: Header=BB5_270 Depth=1
	s_or_b32 exec_lo, exec_lo, s48
	s_branch .LBB5_835
.LBB5_702:                              ;   in Loop: Header=BB5_270 Depth=1
	v_readfirstlane_b32 s2, v56
	v_mov_b64_e32 v[6:7], 0
	s_delay_alu instid0(VALU_DEP_2)
	v_cmp_eq_u32_e64 s2, s2, v56
	s_and_saveexec_b32 s3, s2
	s_cbranch_execz .LBB5_708
; %bb.703:                              ;   in Loop: Header=BB5_270 Depth=1
	global_load_b64 v[18:19], v1, s[34:35] offset:24 scope:SCOPE_SYS
	s_wait_loadcnt 0x0
	global_inv scope:SCOPE_SYS
	s_clause 0x1
	global_load_b64 v[6:7], v1, s[34:35] offset:40
	global_load_b64 v[16:17], v1, s[34:35]
	s_mov_b32 s46, exec_lo
	s_wait_loadcnt 0x1
	v_and_b32_e32 v6, v6, v18
	v_and_b32_e32 v7, v7, v19
	s_delay_alu instid0(VALU_DEP_1) | instskip(SKIP_1) | instid1(VALU_DEP_1)
	v_mul_u64_e32 v[6:7], 24, v[6:7]
	s_wait_loadcnt 0x0
	v_add_nc_u64_e32 v[6:7], v[16:17], v[6:7]
	global_load_b64 v[16:17], v[6:7], off scope:SCOPE_SYS
	s_wait_xcnt 0x0
	s_wait_loadcnt 0x0
	global_atomic_cmpswap_b64 v[6:7], v1, v[16:19], s[34:35] offset:24 th:TH_ATOMIC_RETURN scope:SCOPE_SYS
	s_wait_loadcnt 0x0
	global_inv scope:SCOPE_SYS
	s_wait_xcnt 0x0
	v_cmpx_ne_u64_e64 v[6:7], v[18:19]
	s_cbranch_execz .LBB5_707
; %bb.704:                              ;   in Loop: Header=BB5_270 Depth=1
	s_mov_b32 s47, 0
.LBB5_705:                              ;   Parent Loop BB5_270 Depth=1
                                        ; =>  This Inner Loop Header: Depth=2
	s_sleep 1
	s_clause 0x1
	global_load_b64 v[16:17], v1, s[34:35] offset:40
	global_load_b64 v[20:21], v1, s[34:35]
	v_mov_b64_e32 v[18:19], v[6:7]
	s_wait_loadcnt 0x1
	s_delay_alu instid0(VALU_DEP_1) | instskip(SKIP_1) | instid1(VALU_DEP_1)
	v_and_b32_e32 v0, v16, v18
	s_wait_loadcnt 0x0
	v_mad_nc_u64_u32 v[6:7], v0, 24, v[20:21]
	s_delay_alu instid0(VALU_DEP_3) | instskip(NEXT) | instid1(VALU_DEP_1)
	v_and_b32_e32 v0, v17, v19
	v_mad_u32 v7, v0, 24, v7
	global_load_b64 v[16:17], v[6:7], off scope:SCOPE_SYS
	s_wait_xcnt 0x0
	s_wait_loadcnt 0x0
	global_atomic_cmpswap_b64 v[6:7], v1, v[16:19], s[34:35] offset:24 th:TH_ATOMIC_RETURN scope:SCOPE_SYS
	s_wait_loadcnt 0x0
	global_inv scope:SCOPE_SYS
	v_cmp_eq_u64_e32 vcc_lo, v[6:7], v[18:19]
	s_or_b32 s47, vcc_lo, s47
	s_wait_xcnt 0x0
	s_and_not1_b32 exec_lo, exec_lo, s47
	s_cbranch_execnz .LBB5_705
; %bb.706:                              ;   in Loop: Header=BB5_270 Depth=1
	s_or_b32 exec_lo, exec_lo, s47
.LBB5_707:                              ;   in Loop: Header=BB5_270 Depth=1
	s_delay_alu instid0(SALU_CYCLE_1)
	s_or_b32 exec_lo, exec_lo, s46
.LBB5_708:                              ;   in Loop: Header=BB5_270 Depth=1
	s_delay_alu instid0(SALU_CYCLE_1)
	s_or_b32 exec_lo, exec_lo, s3
	s_clause 0x1
	global_load_b64 v[20:21], v1, s[34:35] offset:40
	global_load_b128 v[16:19], v1, s[34:35]
	v_readfirstlane_b32 s46, v6
	v_readfirstlane_b32 s47, v7
	s_mov_b32 s3, exec_lo
	s_wait_loadcnt 0x1
	v_and_b32_e32 v6, s46, v20
	v_and_b32_e32 v7, s47, v21
	s_delay_alu instid0(VALU_DEP_1) | instskip(SKIP_1) | instid1(VALU_DEP_1)
	v_mul_u64_e32 v[20:21], 24, v[6:7]
	s_wait_loadcnt 0x0
	v_add_nc_u64_e32 v[20:21], v[16:17], v[20:21]
	s_wait_xcnt 0x0
	s_and_saveexec_b32 s48, s2
	s_cbranch_execz .LBB5_710
; %bb.709:                              ;   in Loop: Header=BB5_270 Depth=1
	v_mov_b32_e32 v0, s3
	global_store_b128 v[20:21], v[0:3], off offset:8
.LBB5_710:                              ;   in Loop: Header=BB5_270 Depth=1
	s_wait_xcnt 0x0
	s_or_b32 exec_lo, exec_lo, s48
	v_lshlrev_b64_e32 v[6:7], 12, v[6:7]
	v_mov_b64_e32 v[26:27], s[6:7]
	v_mov_b64_e32 v[24:25], s[4:5]
	v_mov_b32_e32 v5, v1
	s_delay_alu instid0(VALU_DEP_4) | instskip(SKIP_1) | instid1(VALU_DEP_2)
	v_add_nc_u64_e32 v[22:23], v[18:19], v[6:7]
	v_dual_mov_b32 v6, v1 :: v_dual_mov_b32 v7, v1
	v_readfirstlane_b32 s48, v22
	s_delay_alu instid0(VALU_DEP_3)
	v_readfirstlane_b32 s49, v23
	s_clause 0x3
	global_store_b128 v42, v[4:7], s[48:49]
	global_store_b128 v42, v[24:27], s[48:49] offset:16
	global_store_b128 v42, v[24:27], s[48:49] offset:32
	global_store_b128 v42, v[24:27], s[48:49] offset:48
	s_wait_xcnt 0x0
	s_and_saveexec_b32 s3, s2
	s_cbranch_execz .LBB5_718
; %bb.711:                              ;   in Loop: Header=BB5_270 Depth=1
	s_clause 0x1
	global_load_b64 v[26:27], v1, s[34:35] offset:32 scope:SCOPE_SYS
	global_load_b64 v[6:7], v1, s[34:35] offset:40
	s_mov_b32 s48, exec_lo
	v_dual_mov_b32 v24, s46 :: v_dual_mov_b32 v25, s47
	s_wait_loadcnt 0x0
	v_and_b32_e32 v7, s47, v7
	v_and_b32_e32 v6, s46, v6
	s_delay_alu instid0(VALU_DEP_1) | instskip(NEXT) | instid1(VALU_DEP_1)
	v_mul_u64_e32 v[6:7], 24, v[6:7]
	v_add_nc_u64_e32 v[6:7], v[16:17], v[6:7]
	global_store_b64 v[6:7], v[26:27], off
	global_wb scope:SCOPE_SYS
	s_wait_storecnt 0x0
	s_wait_xcnt 0x0
	global_atomic_cmpswap_b64 v[18:19], v1, v[24:27], s[34:35] offset:32 th:TH_ATOMIC_RETURN scope:SCOPE_SYS
	s_wait_loadcnt 0x0
	v_cmpx_ne_u64_e64 v[18:19], v[26:27]
	s_cbranch_execz .LBB5_714
; %bb.712:                              ;   in Loop: Header=BB5_270 Depth=1
	s_mov_b32 s49, 0
.LBB5_713:                              ;   Parent Loop BB5_270 Depth=1
                                        ; =>  This Inner Loop Header: Depth=2
	v_dual_mov_b32 v16, s46 :: v_dual_mov_b32 v17, s47
	s_sleep 1
	global_store_b64 v[6:7], v[18:19], off
	global_wb scope:SCOPE_SYS
	s_wait_storecnt 0x0
	s_wait_xcnt 0x0
	global_atomic_cmpswap_b64 v[16:17], v1, v[16:19], s[34:35] offset:32 th:TH_ATOMIC_RETURN scope:SCOPE_SYS
	s_wait_loadcnt 0x0
	v_cmp_eq_u64_e32 vcc_lo, v[16:17], v[18:19]
	v_mov_b64_e32 v[18:19], v[16:17]
	s_or_b32 s49, vcc_lo, s49
	s_delay_alu instid0(SALU_CYCLE_1)
	s_and_not1_b32 exec_lo, exec_lo, s49
	s_cbranch_execnz .LBB5_713
.LBB5_714:                              ;   in Loop: Header=BB5_270 Depth=1
	s_or_b32 exec_lo, exec_lo, s48
	global_load_b64 v[6:7], v1, s[34:35] offset:16
	s_mov_b32 s49, exec_lo
	s_mov_b32 s48, exec_lo
	v_mbcnt_lo_u32_b32 v0, s49, 0
	s_wait_xcnt 0x0
	s_delay_alu instid0(VALU_DEP_1)
	v_cmpx_eq_u32_e32 0, v0
	s_cbranch_execz .LBB5_716
; %bb.715:                              ;   in Loop: Header=BB5_270 Depth=1
	s_bcnt1_i32_b32 s49, s49
	s_delay_alu instid0(SALU_CYCLE_1)
	v_mov_b32_e32 v0, s49
	global_wb scope:SCOPE_SYS
	s_wait_loadcnt 0x0
	s_wait_storecnt 0x0
	global_atomic_add_u64 v[6:7], v[0:1], off offset:8 scope:SCOPE_SYS
.LBB5_716:                              ;   in Loop: Header=BB5_270 Depth=1
	s_wait_xcnt 0x0
	s_or_b32 exec_lo, exec_lo, s48
	s_wait_loadcnt 0x0
	global_load_b64 v[16:17], v[6:7], off offset:16
	s_wait_loadcnt 0x0
	v_cmp_eq_u64_e32 vcc_lo, 0, v[16:17]
	s_cbranch_vccnz .LBB5_718
; %bb.717:                              ;   in Loop: Header=BB5_270 Depth=1
	global_load_b32 v0, v[6:7], off offset:24
	s_wait_loadcnt 0x0
	v_readfirstlane_b32 s48, v0
	global_wb scope:SCOPE_SYS
	s_wait_storecnt 0x0
	s_wait_xcnt 0x0
	global_store_b64 v[16:17], v[0:1], off scope:SCOPE_SYS
	s_and_b32 m0, s48, 0xffffff
	s_sendmsg sendmsg(MSG_INTERRUPT)
.LBB5_718:                              ;   in Loop: Header=BB5_270 Depth=1
	s_wait_xcnt 0x0
	s_or_b32 exec_lo, exec_lo, s3
	v_mov_b32_e32 v43, v1
	s_delay_alu instid0(VALU_DEP_1)
	v_add_nc_u64_e32 v[6:7], v[22:23], v[42:43]
	s_branch .LBB5_722
.LBB5_719:                              ;   in Loop: Header=BB5_722 Depth=2
	s_wait_xcnt 0x0
	s_or_b32 exec_lo, exec_lo, s3
	s_delay_alu instid0(VALU_DEP_1)
	v_readfirstlane_b32 s3, v0
	s_cmp_eq_u32 s3, 0
	s_cbranch_scc1 .LBB5_721
; %bb.720:                              ;   in Loop: Header=BB5_722 Depth=2
	s_sleep 1
	s_cbranch_execnz .LBB5_722
	s_branch .LBB5_724
.LBB5_721:                              ;   in Loop: Header=BB5_270 Depth=1
	s_branch .LBB5_724
.LBB5_722:                              ;   Parent Loop BB5_270 Depth=1
                                        ; =>  This Inner Loop Header: Depth=2
	v_mov_b32_e32 v0, 1
	s_and_saveexec_b32 s3, s2
	s_cbranch_execz .LBB5_719
; %bb.723:                              ;   in Loop: Header=BB5_722 Depth=2
	global_load_b32 v0, v[20:21], off offset:20 scope:SCOPE_SYS
	s_wait_loadcnt 0x0
	global_inv scope:SCOPE_SYS
	v_and_b32_e32 v0, 1, v0
	s_branch .LBB5_719
.LBB5_724:                              ;   in Loop: Header=BB5_270 Depth=1
	global_load_b64 v[16:17], v[6:7], off
	s_wait_xcnt 0x0
	s_and_saveexec_b32 s48, s2
	s_cbranch_execz .LBB5_728
; %bb.725:                              ;   in Loop: Header=BB5_270 Depth=1
	s_clause 0x2
	global_load_b64 v[6:7], v1, s[34:35] offset:40
	global_load_b64 v[22:23], v1, s[34:35] offset:24 scope:SCOPE_SYS
	global_load_b64 v[18:19], v1, s[34:35]
	s_wait_loadcnt 0x2
	v_readfirstlane_b32 s50, v6
	v_readfirstlane_b32 s51, v7
	s_add_nc_u64 s[2:3], s[50:51], 1
	s_delay_alu instid0(SALU_CYCLE_1) | instskip(NEXT) | instid1(SALU_CYCLE_1)
	s_add_nc_u64 s[46:47], s[2:3], s[46:47]
	s_cmp_eq_u64 s[46:47], 0
	s_cselect_b32 s3, s3, s47
	s_cselect_b32 s2, s2, s46
	s_delay_alu instid0(SALU_CYCLE_1) | instskip(SKIP_1) | instid1(SALU_CYCLE_1)
	v_dual_mov_b32 v21, s3 :: v_dual_mov_b32 v20, s2
	s_and_b64 s[46:47], s[2:3], s[50:51]
	s_mul_u64 s[46:47], s[46:47], 24
	s_wait_loadcnt 0x0
	v_add_nc_u64_e32 v[6:7], s[46:47], v[18:19]
	global_store_b64 v[6:7], v[22:23], off
	global_wb scope:SCOPE_SYS
	s_wait_storecnt 0x0
	s_wait_xcnt 0x0
	global_atomic_cmpswap_b64 v[20:21], v1, v[20:23], s[34:35] offset:24 th:TH_ATOMIC_RETURN scope:SCOPE_SYS
	s_wait_loadcnt 0x0
	v_cmp_ne_u64_e32 vcc_lo, v[20:21], v[22:23]
	s_and_b32 exec_lo, exec_lo, vcc_lo
	s_cbranch_execz .LBB5_728
; %bb.726:                              ;   in Loop: Header=BB5_270 Depth=1
	s_mov_b32 s46, 0
.LBB5_727:                              ;   Parent Loop BB5_270 Depth=1
                                        ; =>  This Inner Loop Header: Depth=2
	v_dual_mov_b32 v18, s2 :: v_dual_mov_b32 v19, s3
	s_sleep 1
	global_store_b64 v[6:7], v[20:21], off
	global_wb scope:SCOPE_SYS
	s_wait_storecnt 0x0
	s_wait_xcnt 0x0
	global_atomic_cmpswap_b64 v[18:19], v1, v[18:21], s[34:35] offset:24 th:TH_ATOMIC_RETURN scope:SCOPE_SYS
	s_wait_loadcnt 0x0
	v_cmp_eq_u64_e32 vcc_lo, v[18:19], v[20:21]
	v_mov_b64_e32 v[20:21], v[18:19]
	s_or_b32 s46, vcc_lo, s46
	s_delay_alu instid0(SALU_CYCLE_1)
	s_and_not1_b32 exec_lo, exec_lo, s46
	s_cbranch_execnz .LBB5_727
.LBB5_728:                              ;   in Loop: Header=BB5_270 Depth=1
	s_or_b32 exec_lo, exec_lo, s48
	s_delay_alu instid0(SALU_CYCLE_1)
	s_and_b32 vcc_lo, exec_lo, s57
	s_cbranch_vccz .LBB5_807
; %bb.729:                              ;   in Loop: Header=BB5_270 Depth=1
	s_wait_loadcnt 0x0
	v_dual_mov_b32 v19, v17 :: v_dual_bitop2_b32 v18, -3, v16 bitop3:0x40
	s_mov_b64 s[48:49], 2
	s_get_pc_i64 s[46:47]
	s_add_nc_u64 s[46:47], s[46:47], .str.6@rel64+4
	s_branch .LBB5_731
.LBB5_730:                              ;   in Loop: Header=BB5_731 Depth=2
	s_or_b32 exec_lo, exec_lo, s54
	s_sub_nc_u64 s[48:49], s[48:49], s[50:51]
	s_add_nc_u64 s[46:47], s[46:47], s[50:51]
	s_cmp_eq_u64 s[48:49], 0
	s_cbranch_scc1 .LBB5_806
.LBB5_731:                              ;   Parent Loop BB5_270 Depth=1
                                        ; =>  This Loop Header: Depth=2
                                        ;       Child Loop BB5_734 Depth 3
                                        ;       Child Loop BB5_741 Depth 3
	;; [unrolled: 1-line block ×11, first 2 shown]
	v_min_u64 v[6:7], s[48:49], 56
	v_cmp_gt_u64_e64 s2, s[48:49], 7
	s_and_b32 vcc_lo, exec_lo, s2
	v_readfirstlane_b32 s50, v6
	v_readfirstlane_b32 s51, v7
	s_cbranch_vccnz .LBB5_736
; %bb.732:                              ;   in Loop: Header=BB5_731 Depth=2
	s_wait_loadcnt 0x0
	v_mov_b64_e32 v[20:21], 0
	s_cmp_eq_u64 s[48:49], 0
	s_cbranch_scc1 .LBB5_735
; %bb.733:                              ;   in Loop: Header=BB5_731 Depth=2
	s_mov_b64 s[2:3], 0
	s_mov_b64 s[52:53], 0
.LBB5_734:                              ;   Parent Loop BB5_270 Depth=1
                                        ;     Parent Loop BB5_731 Depth=2
                                        ; =>    This Inner Loop Header: Depth=3
	s_wait_xcnt 0x0
	s_add_nc_u64 s[54:55], s[46:47], s[52:53]
	s_add_nc_u64 s[52:53], s[52:53], 1
	global_load_u8 v0, v1, s[54:55]
	s_cmp_lg_u32 s50, s52
	s_wait_loadcnt 0x0
	v_and_b32_e32 v0, 0xffff, v0
	s_delay_alu instid0(VALU_DEP_1) | instskip(SKIP_1) | instid1(VALU_DEP_1)
	v_lshlrev_b64_e32 v[6:7], s2, v[0:1]
	s_add_nc_u64 s[2:3], s[2:3], 8
	v_or_b32_e32 v20, v6, v20
	s_delay_alu instid0(VALU_DEP_2)
	v_or_b32_e32 v21, v7, v21
	s_cbranch_scc1 .LBB5_734
.LBB5_735:                              ;   in Loop: Header=BB5_731 Depth=2
	s_mov_b64 s[2:3], s[46:47]
	s_mov_b32 s60, 0
	s_cbranch_execz .LBB5_737
	s_branch .LBB5_738
.LBB5_736:                              ;   in Loop: Header=BB5_731 Depth=2
	s_add_nc_u64 s[2:3], s[46:47], 8
	s_mov_b32 s60, 0
.LBB5_737:                              ;   in Loop: Header=BB5_731 Depth=2
	s_wait_loadcnt 0x0
	global_load_b64 v[20:21], v1, s[46:47]
	s_add_co_i32 s60, s50, -8
.LBB5_738:                              ;   in Loop: Header=BB5_731 Depth=2
	s_delay_alu instid0(SALU_CYCLE_1)
	s_cmp_gt_u32 s60, 7
	s_cbranch_scc1 .LBB5_743
; %bb.739:                              ;   in Loop: Header=BB5_731 Depth=2
	v_mov_b64_e32 v[22:23], 0
	s_cmp_eq_u32 s60, 0
	s_cbranch_scc1 .LBB5_742
; %bb.740:                              ;   in Loop: Header=BB5_731 Depth=2
	s_mov_b64 s[52:53], 0
	s_wait_xcnt 0x0
	s_mov_b64 s[54:55], 0
.LBB5_741:                              ;   Parent Loop BB5_270 Depth=1
                                        ;     Parent Loop BB5_731 Depth=2
                                        ; =>    This Inner Loop Header: Depth=3
	s_wait_xcnt 0x0
	s_add_nc_u64 s[62:63], s[2:3], s[54:55]
	s_add_nc_u64 s[54:55], s[54:55], 1
	global_load_u8 v0, v1, s[62:63]
	s_cmp_lg_u32 s60, s54
	s_wait_loadcnt 0x0
	v_and_b32_e32 v0, 0xffff, v0
	s_delay_alu instid0(VALU_DEP_1) | instskip(SKIP_1) | instid1(VALU_DEP_1)
	v_lshlrev_b64_e32 v[6:7], s52, v[0:1]
	s_add_nc_u64 s[52:53], s[52:53], 8
	v_or_b32_e32 v22, v6, v22
	s_delay_alu instid0(VALU_DEP_2)
	v_or_b32_e32 v23, v7, v23
	s_cbranch_scc1 .LBB5_741
.LBB5_742:                              ;   in Loop: Header=BB5_731 Depth=2
	s_wait_xcnt 0x0
	s_mov_b64 s[52:53], s[2:3]
	s_mov_b32 s61, 0
	s_cbranch_execz .LBB5_744
	s_branch .LBB5_745
.LBB5_743:                              ;   in Loop: Header=BB5_731 Depth=2
	s_add_nc_u64 s[52:53], s[2:3], 8
	s_wait_xcnt 0x0
                                        ; implicit-def: $vgpr22_vgpr23
	s_mov_b32 s61, 0
.LBB5_744:                              ;   in Loop: Header=BB5_731 Depth=2
	global_load_b64 v[22:23], v1, s[2:3]
	s_add_co_i32 s61, s60, -8
.LBB5_745:                              ;   in Loop: Header=BB5_731 Depth=2
	s_delay_alu instid0(SALU_CYCLE_1)
	s_cmp_gt_u32 s61, 7
	s_cbranch_scc1 .LBB5_750
; %bb.746:                              ;   in Loop: Header=BB5_731 Depth=2
	v_mov_b64_e32 v[24:25], 0
	s_cmp_eq_u32 s61, 0
	s_cbranch_scc1 .LBB5_749
; %bb.747:                              ;   in Loop: Header=BB5_731 Depth=2
	s_wait_xcnt 0x0
	s_mov_b64 s[2:3], 0
	s_mov_b64 s[54:55], 0
.LBB5_748:                              ;   Parent Loop BB5_270 Depth=1
                                        ;     Parent Loop BB5_731 Depth=2
                                        ; =>    This Inner Loop Header: Depth=3
	s_wait_xcnt 0x0
	s_add_nc_u64 s[62:63], s[52:53], s[54:55]
	s_add_nc_u64 s[54:55], s[54:55], 1
	global_load_u8 v0, v1, s[62:63]
	s_cmp_lg_u32 s61, s54
	s_wait_loadcnt 0x0
	v_and_b32_e32 v0, 0xffff, v0
	s_delay_alu instid0(VALU_DEP_1) | instskip(SKIP_1) | instid1(VALU_DEP_1)
	v_lshlrev_b64_e32 v[6:7], s2, v[0:1]
	s_add_nc_u64 s[2:3], s[2:3], 8
	v_or_b32_e32 v24, v6, v24
	s_delay_alu instid0(VALU_DEP_2)
	v_or_b32_e32 v25, v7, v25
	s_cbranch_scc1 .LBB5_748
.LBB5_749:                              ;   in Loop: Header=BB5_731 Depth=2
	s_wait_xcnt 0x0
	s_mov_b64 s[2:3], s[52:53]
	s_mov_b32 s60, 0
	s_cbranch_execz .LBB5_751
	s_branch .LBB5_752
.LBB5_750:                              ;   in Loop: Header=BB5_731 Depth=2
	s_wait_xcnt 0x0
	s_add_nc_u64 s[2:3], s[52:53], 8
	s_mov_b32 s60, 0
.LBB5_751:                              ;   in Loop: Header=BB5_731 Depth=2
	global_load_b64 v[24:25], v1, s[52:53]
	s_add_co_i32 s60, s61, -8
.LBB5_752:                              ;   in Loop: Header=BB5_731 Depth=2
	s_delay_alu instid0(SALU_CYCLE_1)
	s_cmp_gt_u32 s60, 7
	s_cbranch_scc1 .LBB5_757
; %bb.753:                              ;   in Loop: Header=BB5_731 Depth=2
	v_mov_b64_e32 v[26:27], 0
	s_cmp_eq_u32 s60, 0
	s_cbranch_scc1 .LBB5_756
; %bb.754:                              ;   in Loop: Header=BB5_731 Depth=2
	s_wait_xcnt 0x0
	s_mov_b64 s[52:53], 0
	s_mov_b64 s[54:55], 0
.LBB5_755:                              ;   Parent Loop BB5_270 Depth=1
                                        ;     Parent Loop BB5_731 Depth=2
                                        ; =>    This Inner Loop Header: Depth=3
	s_wait_xcnt 0x0
	s_add_nc_u64 s[62:63], s[2:3], s[54:55]
	s_add_nc_u64 s[54:55], s[54:55], 1
	global_load_u8 v0, v1, s[62:63]
	s_cmp_lg_u32 s60, s54
	s_wait_loadcnt 0x0
	v_and_b32_e32 v0, 0xffff, v0
	s_delay_alu instid0(VALU_DEP_1) | instskip(SKIP_1) | instid1(VALU_DEP_1)
	v_lshlrev_b64_e32 v[6:7], s52, v[0:1]
	s_add_nc_u64 s[52:53], s[52:53], 8
	v_or_b32_e32 v26, v6, v26
	s_delay_alu instid0(VALU_DEP_2)
	v_or_b32_e32 v27, v7, v27
	s_cbranch_scc1 .LBB5_755
.LBB5_756:                              ;   in Loop: Header=BB5_731 Depth=2
	s_wait_xcnt 0x0
	s_mov_b64 s[52:53], s[2:3]
	s_mov_b32 s61, 0
	s_cbranch_execz .LBB5_758
	s_branch .LBB5_759
.LBB5_757:                              ;   in Loop: Header=BB5_731 Depth=2
	s_wait_xcnt 0x0
	s_add_nc_u64 s[52:53], s[2:3], 8
                                        ; implicit-def: $vgpr26_vgpr27
	s_mov_b32 s61, 0
.LBB5_758:                              ;   in Loop: Header=BB5_731 Depth=2
	global_load_b64 v[26:27], v1, s[2:3]
	s_add_co_i32 s61, s60, -8
.LBB5_759:                              ;   in Loop: Header=BB5_731 Depth=2
	s_delay_alu instid0(SALU_CYCLE_1)
	s_cmp_gt_u32 s61, 7
	s_cbranch_scc1 .LBB5_764
; %bb.760:                              ;   in Loop: Header=BB5_731 Depth=2
	v_mov_b64_e32 v[28:29], 0
	s_cmp_eq_u32 s61, 0
	s_cbranch_scc1 .LBB5_763
; %bb.761:                              ;   in Loop: Header=BB5_731 Depth=2
	s_wait_xcnt 0x0
	s_mov_b64 s[2:3], 0
	s_mov_b64 s[54:55], 0
.LBB5_762:                              ;   Parent Loop BB5_270 Depth=1
                                        ;     Parent Loop BB5_731 Depth=2
                                        ; =>    This Inner Loop Header: Depth=3
	s_wait_xcnt 0x0
	s_add_nc_u64 s[62:63], s[52:53], s[54:55]
	s_add_nc_u64 s[54:55], s[54:55], 1
	global_load_u8 v0, v1, s[62:63]
	s_cmp_lg_u32 s61, s54
	s_wait_loadcnt 0x0
	v_and_b32_e32 v0, 0xffff, v0
	s_delay_alu instid0(VALU_DEP_1) | instskip(SKIP_1) | instid1(VALU_DEP_1)
	v_lshlrev_b64_e32 v[6:7], s2, v[0:1]
	s_add_nc_u64 s[2:3], s[2:3], 8
	v_or_b32_e32 v28, v6, v28
	s_delay_alu instid0(VALU_DEP_2)
	v_or_b32_e32 v29, v7, v29
	s_cbranch_scc1 .LBB5_762
.LBB5_763:                              ;   in Loop: Header=BB5_731 Depth=2
	s_wait_xcnt 0x0
	s_mov_b64 s[2:3], s[52:53]
	s_mov_b32 s60, 0
	s_cbranch_execz .LBB5_765
	s_branch .LBB5_766
.LBB5_764:                              ;   in Loop: Header=BB5_731 Depth=2
	s_wait_xcnt 0x0
	s_add_nc_u64 s[2:3], s[52:53], 8
	s_mov_b32 s60, 0
.LBB5_765:                              ;   in Loop: Header=BB5_731 Depth=2
	global_load_b64 v[28:29], v1, s[52:53]
	s_add_co_i32 s60, s61, -8
.LBB5_766:                              ;   in Loop: Header=BB5_731 Depth=2
	s_delay_alu instid0(SALU_CYCLE_1)
	s_cmp_gt_u32 s60, 7
	s_cbranch_scc1 .LBB5_771
; %bb.767:                              ;   in Loop: Header=BB5_731 Depth=2
	v_mov_b64_e32 v[30:31], 0
	s_cmp_eq_u32 s60, 0
	s_cbranch_scc1 .LBB5_770
; %bb.768:                              ;   in Loop: Header=BB5_731 Depth=2
	s_wait_xcnt 0x0
	s_mov_b64 s[52:53], 0
	s_mov_b64 s[54:55], 0
.LBB5_769:                              ;   Parent Loop BB5_270 Depth=1
                                        ;     Parent Loop BB5_731 Depth=2
                                        ; =>    This Inner Loop Header: Depth=3
	s_wait_xcnt 0x0
	s_add_nc_u64 s[62:63], s[2:3], s[54:55]
	s_add_nc_u64 s[54:55], s[54:55], 1
	global_load_u8 v0, v1, s[62:63]
	s_cmp_lg_u32 s60, s54
	s_wait_loadcnt 0x0
	v_and_b32_e32 v0, 0xffff, v0
	s_delay_alu instid0(VALU_DEP_1) | instskip(SKIP_1) | instid1(VALU_DEP_1)
	v_lshlrev_b64_e32 v[6:7], s52, v[0:1]
	s_add_nc_u64 s[52:53], s[52:53], 8
	v_or_b32_e32 v30, v6, v30
	s_delay_alu instid0(VALU_DEP_2)
	v_or_b32_e32 v31, v7, v31
	s_cbranch_scc1 .LBB5_769
.LBB5_770:                              ;   in Loop: Header=BB5_731 Depth=2
	s_wait_xcnt 0x0
	s_mov_b64 s[52:53], s[2:3]
	s_mov_b32 s61, 0
	s_cbranch_execz .LBB5_772
	s_branch .LBB5_773
.LBB5_771:                              ;   in Loop: Header=BB5_731 Depth=2
	s_wait_xcnt 0x0
	s_add_nc_u64 s[52:53], s[2:3], 8
                                        ; implicit-def: $vgpr30_vgpr31
	s_mov_b32 s61, 0
.LBB5_772:                              ;   in Loop: Header=BB5_731 Depth=2
	global_load_b64 v[30:31], v1, s[2:3]
	s_add_co_i32 s61, s60, -8
.LBB5_773:                              ;   in Loop: Header=BB5_731 Depth=2
	s_delay_alu instid0(SALU_CYCLE_1)
	s_cmp_gt_u32 s61, 7
	s_cbranch_scc1 .LBB5_778
; %bb.774:                              ;   in Loop: Header=BB5_731 Depth=2
	v_mov_b64_e32 v[32:33], 0
	s_cmp_eq_u32 s61, 0
	s_cbranch_scc1 .LBB5_777
; %bb.775:                              ;   in Loop: Header=BB5_731 Depth=2
	s_wait_xcnt 0x0
	s_mov_b64 s[2:3], 0
	s_mov_b64 s[54:55], s[52:53]
.LBB5_776:                              ;   Parent Loop BB5_270 Depth=1
                                        ;     Parent Loop BB5_731 Depth=2
                                        ; =>    This Inner Loop Header: Depth=3
	global_load_u8 v0, v1, s[54:55]
	s_add_co_i32 s61, s61, -1
	s_wait_xcnt 0x0
	s_add_nc_u64 s[54:55], s[54:55], 1
	s_cmp_lg_u32 s61, 0
	s_wait_loadcnt 0x0
	v_and_b32_e32 v0, 0xffff, v0
	s_delay_alu instid0(VALU_DEP_1) | instskip(SKIP_1) | instid1(VALU_DEP_1)
	v_lshlrev_b64_e32 v[6:7], s2, v[0:1]
	s_add_nc_u64 s[2:3], s[2:3], 8
	v_or_b32_e32 v32, v6, v32
	s_delay_alu instid0(VALU_DEP_2)
	v_or_b32_e32 v33, v7, v33
	s_cbranch_scc1 .LBB5_776
.LBB5_777:                              ;   in Loop: Header=BB5_731 Depth=2
	s_wait_xcnt 0x0
	s_cbranch_execz .LBB5_779
	s_branch .LBB5_780
.LBB5_778:                              ;   in Loop: Header=BB5_731 Depth=2
	s_wait_xcnt 0x0
.LBB5_779:                              ;   in Loop: Header=BB5_731 Depth=2
	global_load_b64 v[32:33], v1, s[52:53]
.LBB5_780:                              ;   in Loop: Header=BB5_731 Depth=2
	v_readfirstlane_b32 s2, v56
	v_mov_b64_e32 v[6:7], 0
	s_delay_alu instid0(VALU_DEP_2)
	v_cmp_eq_u32_e64 s2, s2, v56
	s_wait_xcnt 0x0
	s_and_saveexec_b32 s3, s2
	s_cbranch_execz .LBB5_786
; %bb.781:                              ;   in Loop: Header=BB5_731 Depth=2
	global_load_b64 v[36:37], v1, s[34:35] offset:24 scope:SCOPE_SYS
	s_wait_loadcnt 0x0
	global_inv scope:SCOPE_SYS
	s_clause 0x1
	global_load_b64 v[6:7], v1, s[34:35] offset:40
	global_load_b64 v[34:35], v1, s[34:35]
	s_mov_b32 s52, exec_lo
	s_wait_loadcnt 0x1
	v_and_b32_e32 v6, v6, v36
	v_and_b32_e32 v7, v7, v37
	s_delay_alu instid0(VALU_DEP_1) | instskip(SKIP_1) | instid1(VALU_DEP_1)
	v_mul_u64_e32 v[6:7], 24, v[6:7]
	s_wait_loadcnt 0x0
	v_add_nc_u64_e32 v[6:7], v[34:35], v[6:7]
	global_load_b64 v[34:35], v[6:7], off scope:SCOPE_SYS
	s_wait_xcnt 0x0
	s_wait_loadcnt 0x0
	global_atomic_cmpswap_b64 v[6:7], v1, v[34:37], s[34:35] offset:24 th:TH_ATOMIC_RETURN scope:SCOPE_SYS
	s_wait_loadcnt 0x0
	global_inv scope:SCOPE_SYS
	s_wait_xcnt 0x0
	v_cmpx_ne_u64_e64 v[6:7], v[36:37]
	s_cbranch_execz .LBB5_785
; %bb.782:                              ;   in Loop: Header=BB5_731 Depth=2
	s_mov_b32 s53, 0
.LBB5_783:                              ;   Parent Loop BB5_270 Depth=1
                                        ;     Parent Loop BB5_731 Depth=2
                                        ; =>    This Inner Loop Header: Depth=3
	s_sleep 1
	s_clause 0x1
	global_load_b64 v[34:35], v1, s[34:35] offset:40
	global_load_b64 v[38:39], v1, s[34:35]
	v_mov_b64_e32 v[36:37], v[6:7]
	s_wait_loadcnt 0x1
	s_delay_alu instid0(VALU_DEP_1) | instskip(SKIP_1) | instid1(VALU_DEP_1)
	v_and_b32_e32 v0, v34, v36
	s_wait_loadcnt 0x0
	v_mad_nc_u64_u32 v[6:7], v0, 24, v[38:39]
	s_delay_alu instid0(VALU_DEP_3) | instskip(NEXT) | instid1(VALU_DEP_1)
	v_and_b32_e32 v0, v35, v37
	v_mad_u32 v7, v0, 24, v7
	global_load_b64 v[34:35], v[6:7], off scope:SCOPE_SYS
	s_wait_xcnt 0x0
	s_wait_loadcnt 0x0
	global_atomic_cmpswap_b64 v[6:7], v1, v[34:37], s[34:35] offset:24 th:TH_ATOMIC_RETURN scope:SCOPE_SYS
	s_wait_loadcnt 0x0
	global_inv scope:SCOPE_SYS
	v_cmp_eq_u64_e32 vcc_lo, v[6:7], v[36:37]
	s_or_b32 s53, vcc_lo, s53
	s_wait_xcnt 0x0
	s_and_not1_b32 exec_lo, exec_lo, s53
	s_cbranch_execnz .LBB5_783
; %bb.784:                              ;   in Loop: Header=BB5_731 Depth=2
	s_or_b32 exec_lo, exec_lo, s53
.LBB5_785:                              ;   in Loop: Header=BB5_731 Depth=2
	s_delay_alu instid0(SALU_CYCLE_1)
	s_or_b32 exec_lo, exec_lo, s52
.LBB5_786:                              ;   in Loop: Header=BB5_731 Depth=2
	s_delay_alu instid0(SALU_CYCLE_1)
	s_or_b32 exec_lo, exec_lo, s3
	s_clause 0x1
	global_load_b64 v[38:39], v1, s[34:35] offset:40
	global_load_b128 v[34:37], v1, s[34:35]
	v_readfirstlane_b32 s52, v6
	v_readfirstlane_b32 s53, v7
	s_mov_b32 s3, exec_lo
	s_wait_loadcnt 0x1
	v_and_b32_e32 v38, s52, v38
	v_and_b32_e32 v39, s53, v39
	s_delay_alu instid0(VALU_DEP_1) | instskip(SKIP_1) | instid1(VALU_DEP_1)
	v_mul_u64_e32 v[6:7], 24, v[38:39]
	s_wait_loadcnt 0x0
	v_add_nc_u64_e32 v[6:7], v[34:35], v[6:7]
	s_wait_xcnt 0x0
	s_and_saveexec_b32 s54, s2
	s_cbranch_execz .LBB5_788
; %bb.787:                              ;   in Loop: Header=BB5_731 Depth=2
	v_mov_b32_e32 v0, s3
	global_store_b128 v[6:7], v[0:3], off offset:8
.LBB5_788:                              ;   in Loop: Header=BB5_731 Depth=2
	s_wait_xcnt 0x0
	s_or_b32 exec_lo, exec_lo, s54
	v_cmp_gt_u64_e64 s3, s[48:49], 56
	v_lshlrev_b64_e32 v[38:39], 12, v[38:39]
	v_and_b32_e32 v0, 0xffffff1f, v18
	s_and_b32 s3, s3, exec_lo
	s_delay_alu instid0(VALU_DEP_2) | instskip(SKIP_4) | instid1(VALU_DEP_2)
	v_add_nc_u64_e32 v[36:37], v[36:37], v[38:39]
	s_cselect_b32 s3, 0, 2
	s_lshl_b32 s54, s50, 2
	v_or_b32_e32 v0, s3, v0
	s_add_co_i32 s3, s54, 28
	v_readfirstlane_b32 s54, v36
	s_delay_alu instid0(VALU_DEP_3) | instskip(NEXT) | instid1(VALU_DEP_3)
	v_readfirstlane_b32 s55, v37
	v_and_or_b32 v18, 0x1e0, s3, v0
	s_clause 0x3
	global_store_b128 v42, v[18:21], s[54:55]
	global_store_b128 v42, v[22:25], s[54:55] offset:16
	global_store_b128 v42, v[26:29], s[54:55] offset:32
	;; [unrolled: 1-line block ×3, first 2 shown]
	s_wait_xcnt 0x0
	s_and_saveexec_b32 s3, s2
	s_cbranch_execz .LBB5_796
; %bb.789:                              ;   in Loop: Header=BB5_731 Depth=2
	s_clause 0x1
	global_load_b64 v[26:27], v1, s[34:35] offset:32 scope:SCOPE_SYS
	global_load_b64 v[18:19], v1, s[34:35] offset:40
	s_mov_b32 s54, exec_lo
	v_dual_mov_b32 v24, s52 :: v_dual_mov_b32 v25, s53
	s_wait_loadcnt 0x0
	v_and_b32_e32 v19, s53, v19
	v_and_b32_e32 v18, s52, v18
	s_delay_alu instid0(VALU_DEP_1) | instskip(NEXT) | instid1(VALU_DEP_1)
	v_mul_u64_e32 v[18:19], 24, v[18:19]
	v_add_nc_u64_e32 v[22:23], v[34:35], v[18:19]
	global_store_b64 v[22:23], v[26:27], off
	global_wb scope:SCOPE_SYS
	s_wait_storecnt 0x0
	s_wait_xcnt 0x0
	global_atomic_cmpswap_b64 v[20:21], v1, v[24:27], s[34:35] offset:32 th:TH_ATOMIC_RETURN scope:SCOPE_SYS
	s_wait_loadcnt 0x0
	v_cmpx_ne_u64_e64 v[20:21], v[26:27]
	s_cbranch_execz .LBB5_792
; %bb.790:                              ;   in Loop: Header=BB5_731 Depth=2
	s_mov_b32 s55, 0
.LBB5_791:                              ;   Parent Loop BB5_270 Depth=1
                                        ;     Parent Loop BB5_731 Depth=2
                                        ; =>    This Inner Loop Header: Depth=3
	v_dual_mov_b32 v18, s52 :: v_dual_mov_b32 v19, s53
	s_sleep 1
	global_store_b64 v[22:23], v[20:21], off
	global_wb scope:SCOPE_SYS
	s_wait_storecnt 0x0
	s_wait_xcnt 0x0
	global_atomic_cmpswap_b64 v[18:19], v1, v[18:21], s[34:35] offset:32 th:TH_ATOMIC_RETURN scope:SCOPE_SYS
	s_wait_loadcnt 0x0
	v_cmp_eq_u64_e32 vcc_lo, v[18:19], v[20:21]
	v_mov_b64_e32 v[20:21], v[18:19]
	s_or_b32 s55, vcc_lo, s55
	s_delay_alu instid0(SALU_CYCLE_1)
	s_and_not1_b32 exec_lo, exec_lo, s55
	s_cbranch_execnz .LBB5_791
.LBB5_792:                              ;   in Loop: Header=BB5_731 Depth=2
	s_or_b32 exec_lo, exec_lo, s54
	global_load_b64 v[18:19], v1, s[34:35] offset:16
	s_mov_b32 s55, exec_lo
	s_mov_b32 s54, exec_lo
	v_mbcnt_lo_u32_b32 v0, s55, 0
	s_wait_xcnt 0x0
	s_delay_alu instid0(VALU_DEP_1)
	v_cmpx_eq_u32_e32 0, v0
	s_cbranch_execz .LBB5_794
; %bb.793:                              ;   in Loop: Header=BB5_731 Depth=2
	s_bcnt1_i32_b32 s55, s55
	s_delay_alu instid0(SALU_CYCLE_1)
	v_mov_b32_e32 v0, s55
	global_wb scope:SCOPE_SYS
	s_wait_loadcnt 0x0
	s_wait_storecnt 0x0
	global_atomic_add_u64 v[18:19], v[0:1], off offset:8 scope:SCOPE_SYS
.LBB5_794:                              ;   in Loop: Header=BB5_731 Depth=2
	s_wait_xcnt 0x0
	s_or_b32 exec_lo, exec_lo, s54
	s_wait_loadcnt 0x0
	global_load_b64 v[20:21], v[18:19], off offset:16
	s_wait_loadcnt 0x0
	v_cmp_eq_u64_e32 vcc_lo, 0, v[20:21]
	s_cbranch_vccnz .LBB5_796
; %bb.795:                              ;   in Loop: Header=BB5_731 Depth=2
	global_load_b32 v0, v[18:19], off offset:24
	s_wait_loadcnt 0x0
	v_readfirstlane_b32 s54, v0
	global_wb scope:SCOPE_SYS
	s_wait_storecnt 0x0
	s_wait_xcnt 0x0
	global_store_b64 v[20:21], v[0:1], off scope:SCOPE_SYS
	s_and_b32 m0, s54, 0xffffff
	s_sendmsg sendmsg(MSG_INTERRUPT)
.LBB5_796:                              ;   in Loop: Header=BB5_731 Depth=2
	s_wait_xcnt 0x0
	s_or_b32 exec_lo, exec_lo, s3
	v_mov_b32_e32 v43, v1
	s_delay_alu instid0(VALU_DEP_1)
	v_add_nc_u64_e32 v[18:19], v[36:37], v[42:43]
	s_branch .LBB5_800
.LBB5_797:                              ;   in Loop: Header=BB5_800 Depth=3
	s_wait_xcnt 0x0
	s_or_b32 exec_lo, exec_lo, s3
	s_delay_alu instid0(VALU_DEP_1)
	v_readfirstlane_b32 s3, v0
	s_cmp_eq_u32 s3, 0
	s_cbranch_scc1 .LBB5_799
; %bb.798:                              ;   in Loop: Header=BB5_800 Depth=3
	s_sleep 1
	s_cbranch_execnz .LBB5_800
	s_branch .LBB5_802
.LBB5_799:                              ;   in Loop: Header=BB5_731 Depth=2
	s_branch .LBB5_802
.LBB5_800:                              ;   Parent Loop BB5_270 Depth=1
                                        ;     Parent Loop BB5_731 Depth=2
                                        ; =>    This Inner Loop Header: Depth=3
	v_mov_b32_e32 v0, 1
	s_and_saveexec_b32 s3, s2
	s_cbranch_execz .LBB5_797
; %bb.801:                              ;   in Loop: Header=BB5_800 Depth=3
	global_load_b32 v0, v[6:7], off offset:20 scope:SCOPE_SYS
	s_wait_loadcnt 0x0
	global_inv scope:SCOPE_SYS
	v_and_b32_e32 v0, 1, v0
	s_branch .LBB5_797
.LBB5_802:                              ;   in Loop: Header=BB5_731 Depth=2
	global_load_b128 v[18:21], v[18:19], off
	s_wait_xcnt 0x0
	s_and_saveexec_b32 s54, s2
	s_cbranch_execz .LBB5_730
; %bb.803:                              ;   in Loop: Header=BB5_731 Depth=2
	s_clause 0x1
	global_load_b64 v[6:7], v1, s[34:35] offset:40
	global_load_b64 v[24:25], v1, s[34:35] offset:24 scope:SCOPE_SYS
	s_wait_loadcnt 0x2
	global_load_b64 v[20:21], v1, s[34:35]
	s_wait_loadcnt 0x2
	v_readfirstlane_b32 s60, v6
	v_readfirstlane_b32 s61, v7
	s_add_nc_u64 s[2:3], s[60:61], 1
	s_delay_alu instid0(SALU_CYCLE_1) | instskip(NEXT) | instid1(SALU_CYCLE_1)
	s_add_nc_u64 s[52:53], s[2:3], s[52:53]
	s_cmp_eq_u64 s[52:53], 0
	s_cselect_b32 s3, s3, s53
	s_cselect_b32 s2, s2, s52
	s_delay_alu instid0(SALU_CYCLE_1) | instskip(SKIP_1) | instid1(SALU_CYCLE_1)
	v_dual_mov_b32 v23, s3 :: v_dual_mov_b32 v22, s2
	s_and_b64 s[52:53], s[2:3], s[60:61]
	s_mul_u64 s[52:53], s[52:53], 24
	s_wait_loadcnt 0x0
	v_add_nc_u64_e32 v[6:7], s[52:53], v[20:21]
	global_store_b64 v[6:7], v[24:25], off
	global_wb scope:SCOPE_SYS
	s_wait_storecnt 0x0
	s_wait_xcnt 0x0
	global_atomic_cmpswap_b64 v[22:23], v1, v[22:25], s[34:35] offset:24 th:TH_ATOMIC_RETURN scope:SCOPE_SYS
	s_wait_loadcnt 0x0
	v_cmp_ne_u64_e32 vcc_lo, v[22:23], v[24:25]
	s_and_b32 exec_lo, exec_lo, vcc_lo
	s_cbranch_execz .LBB5_730
; %bb.804:                              ;   in Loop: Header=BB5_731 Depth=2
	s_mov_b32 s52, 0
.LBB5_805:                              ;   Parent Loop BB5_270 Depth=1
                                        ;     Parent Loop BB5_731 Depth=2
                                        ; =>    This Inner Loop Header: Depth=3
	v_dual_mov_b32 v20, s2 :: v_dual_mov_b32 v21, s3
	s_sleep 1
	global_store_b64 v[6:7], v[22:23], off
	global_wb scope:SCOPE_SYS
	s_wait_storecnt 0x0
	s_wait_xcnt 0x0
	global_atomic_cmpswap_b64 v[20:21], v1, v[20:23], s[34:35] offset:24 th:TH_ATOMIC_RETURN scope:SCOPE_SYS
	s_wait_loadcnt 0x0
	v_cmp_eq_u64_e32 vcc_lo, v[20:21], v[22:23]
	v_mov_b64_e32 v[22:23], v[20:21]
	s_or_b32 s52, vcc_lo, s52
	s_delay_alu instid0(SALU_CYCLE_1)
	s_and_not1_b32 exec_lo, exec_lo, s52
	s_cbranch_execnz .LBB5_805
	s_branch .LBB5_730
.LBB5_806:                              ;   in Loop: Header=BB5_270 Depth=1
	s_branch .LBB5_835
.LBB5_807:                              ;   in Loop: Header=BB5_270 Depth=1
	s_cbranch_execz .LBB5_835
; %bb.808:                              ;   in Loop: Header=BB5_270 Depth=1
	v_readfirstlane_b32 s2, v56
	v_mov_b64_e32 v[6:7], 0
	s_delay_alu instid0(VALU_DEP_2)
	v_cmp_eq_u32_e64 s2, s2, v56
	s_and_saveexec_b32 s3, s2
	s_cbranch_execz .LBB5_814
; %bb.809:                              ;   in Loop: Header=BB5_270 Depth=1
	s_wait_loadcnt 0x0
	global_load_b64 v[20:21], v1, s[34:35] offset:24 scope:SCOPE_SYS
	s_wait_loadcnt 0x0
	global_inv scope:SCOPE_SYS
	s_clause 0x1
	global_load_b64 v[6:7], v1, s[34:35] offset:40
	global_load_b64 v[18:19], v1, s[34:35]
	s_mov_b32 s46, exec_lo
	s_wait_loadcnt 0x1
	v_and_b32_e32 v6, v6, v20
	v_and_b32_e32 v7, v7, v21
	s_delay_alu instid0(VALU_DEP_1) | instskip(SKIP_1) | instid1(VALU_DEP_1)
	v_mul_u64_e32 v[6:7], 24, v[6:7]
	s_wait_loadcnt 0x0
	v_add_nc_u64_e32 v[6:7], v[18:19], v[6:7]
	global_load_b64 v[18:19], v[6:7], off scope:SCOPE_SYS
	s_wait_xcnt 0x0
	s_wait_loadcnt 0x0
	global_atomic_cmpswap_b64 v[6:7], v1, v[18:21], s[34:35] offset:24 th:TH_ATOMIC_RETURN scope:SCOPE_SYS
	s_wait_loadcnt 0x0
	global_inv scope:SCOPE_SYS
	s_wait_xcnt 0x0
	v_cmpx_ne_u64_e64 v[6:7], v[20:21]
	s_cbranch_execz .LBB5_813
; %bb.810:                              ;   in Loop: Header=BB5_270 Depth=1
	s_mov_b32 s47, 0
.LBB5_811:                              ;   Parent Loop BB5_270 Depth=1
                                        ; =>  This Inner Loop Header: Depth=2
	s_sleep 1
	s_clause 0x1
	global_load_b64 v[18:19], v1, s[34:35] offset:40
	global_load_b64 v[22:23], v1, s[34:35]
	v_mov_b64_e32 v[20:21], v[6:7]
	s_wait_loadcnt 0x1
	s_delay_alu instid0(VALU_DEP_1) | instskip(SKIP_1) | instid1(VALU_DEP_1)
	v_and_b32_e32 v0, v18, v20
	s_wait_loadcnt 0x0
	v_mad_nc_u64_u32 v[6:7], v0, 24, v[22:23]
	s_delay_alu instid0(VALU_DEP_3) | instskip(NEXT) | instid1(VALU_DEP_1)
	v_and_b32_e32 v0, v19, v21
	v_mad_u32 v7, v0, 24, v7
	global_load_b64 v[18:19], v[6:7], off scope:SCOPE_SYS
	s_wait_xcnt 0x0
	s_wait_loadcnt 0x0
	global_atomic_cmpswap_b64 v[6:7], v1, v[18:21], s[34:35] offset:24 th:TH_ATOMIC_RETURN scope:SCOPE_SYS
	s_wait_loadcnt 0x0
	global_inv scope:SCOPE_SYS
	v_cmp_eq_u64_e32 vcc_lo, v[6:7], v[20:21]
	s_or_b32 s47, vcc_lo, s47
	s_wait_xcnt 0x0
	s_and_not1_b32 exec_lo, exec_lo, s47
	s_cbranch_execnz .LBB5_811
; %bb.812:                              ;   in Loop: Header=BB5_270 Depth=1
	s_or_b32 exec_lo, exec_lo, s47
.LBB5_813:                              ;   in Loop: Header=BB5_270 Depth=1
	s_delay_alu instid0(SALU_CYCLE_1)
	s_or_b32 exec_lo, exec_lo, s46
.LBB5_814:                              ;   in Loop: Header=BB5_270 Depth=1
	s_delay_alu instid0(SALU_CYCLE_1)
	s_or_b32 exec_lo, exec_lo, s3
	s_wait_loadcnt 0x0
	s_clause 0x1
	global_load_b64 v[18:19], v1, s[34:35] offset:40
	global_load_b128 v[20:23], v1, s[34:35]
	v_readfirstlane_b32 s46, v6
	v_readfirstlane_b32 s47, v7
	s_mov_b32 s3, exec_lo
	s_wait_loadcnt 0x1
	v_and_b32_e32 v18, s46, v18
	v_and_b32_e32 v19, s47, v19
	s_delay_alu instid0(VALU_DEP_1) | instskip(SKIP_1) | instid1(VALU_DEP_1)
	v_mul_u64_e32 v[6:7], 24, v[18:19]
	s_wait_loadcnt 0x0
	v_add_nc_u64_e32 v[6:7], v[20:21], v[6:7]
	s_wait_xcnt 0x0
	s_and_saveexec_b32 s48, s2
	s_cbranch_execz .LBB5_816
; %bb.815:                              ;   in Loop: Header=BB5_270 Depth=1
	v_mov_b32_e32 v0, s3
	global_store_b128 v[6:7], v[0:3], off offset:8
.LBB5_816:                              ;   in Loop: Header=BB5_270 Depth=1
	s_wait_xcnt 0x0
	s_or_b32 exec_lo, exec_lo, s48
	v_lshlrev_b64_e32 v[18:19], 12, v[18:19]
	v_and_or_b32 v16, 0xffffff1d, v16, 34
	s_delay_alu instid0(VALU_DEP_2) | instskip(SKIP_1) | instid1(VALU_DEP_2)
	v_add_nc_u64_e32 v[22:23], v[22:23], v[18:19]
	v_dual_mov_b32 v18, v1 :: v_dual_mov_b32 v19, v1
	v_readfirstlane_b32 s48, v22
	s_delay_alu instid0(VALU_DEP_3)
	v_readfirstlane_b32 s49, v23
	v_mov_b64_e32 v[24:25], s[6:7]
	v_mov_b64_e32 v[22:23], s[4:5]
	s_clause 0x3
	global_store_b128 v42, v[16:19], s[48:49]
	global_store_b128 v42, v[22:25], s[48:49] offset:16
	global_store_b128 v42, v[22:25], s[48:49] offset:32
	;; [unrolled: 1-line block ×3, first 2 shown]
	s_wait_xcnt 0x0
	s_and_saveexec_b32 s3, s2
	s_cbranch_execz .LBB5_824
; %bb.817:                              ;   in Loop: Header=BB5_270 Depth=1
	s_clause 0x1
	global_load_b64 v[24:25], v1, s[34:35] offset:32 scope:SCOPE_SYS
	global_load_b64 v[16:17], v1, s[34:35] offset:40
	s_mov_b32 s48, exec_lo
	v_dual_mov_b32 v22, s46 :: v_dual_mov_b32 v23, s47
	s_wait_loadcnt 0x0
	v_and_b32_e32 v17, s47, v17
	v_and_b32_e32 v16, s46, v16
	s_delay_alu instid0(VALU_DEP_1) | instskip(NEXT) | instid1(VALU_DEP_1)
	v_mul_u64_e32 v[16:17], 24, v[16:17]
	v_add_nc_u64_e32 v[20:21], v[20:21], v[16:17]
	global_store_b64 v[20:21], v[24:25], off
	global_wb scope:SCOPE_SYS
	s_wait_storecnt 0x0
	s_wait_xcnt 0x0
	global_atomic_cmpswap_b64 v[18:19], v1, v[22:25], s[34:35] offset:32 th:TH_ATOMIC_RETURN scope:SCOPE_SYS
	s_wait_loadcnt 0x0
	v_cmpx_ne_u64_e64 v[18:19], v[24:25]
	s_cbranch_execz .LBB5_820
; %bb.818:                              ;   in Loop: Header=BB5_270 Depth=1
	s_mov_b32 s49, 0
.LBB5_819:                              ;   Parent Loop BB5_270 Depth=1
                                        ; =>  This Inner Loop Header: Depth=2
	v_dual_mov_b32 v16, s46 :: v_dual_mov_b32 v17, s47
	s_sleep 1
	global_store_b64 v[20:21], v[18:19], off
	global_wb scope:SCOPE_SYS
	s_wait_storecnt 0x0
	s_wait_xcnt 0x0
	global_atomic_cmpswap_b64 v[16:17], v1, v[16:19], s[34:35] offset:32 th:TH_ATOMIC_RETURN scope:SCOPE_SYS
	s_wait_loadcnt 0x0
	v_cmp_eq_u64_e32 vcc_lo, v[16:17], v[18:19]
	v_mov_b64_e32 v[18:19], v[16:17]
	s_or_b32 s49, vcc_lo, s49
	s_delay_alu instid0(SALU_CYCLE_1)
	s_and_not1_b32 exec_lo, exec_lo, s49
	s_cbranch_execnz .LBB5_819
.LBB5_820:                              ;   in Loop: Header=BB5_270 Depth=1
	s_or_b32 exec_lo, exec_lo, s48
	global_load_b64 v[16:17], v1, s[34:35] offset:16
	s_mov_b32 s49, exec_lo
	s_mov_b32 s48, exec_lo
	v_mbcnt_lo_u32_b32 v0, s49, 0
	s_wait_xcnt 0x0
	s_delay_alu instid0(VALU_DEP_1)
	v_cmpx_eq_u32_e32 0, v0
	s_cbranch_execz .LBB5_822
; %bb.821:                              ;   in Loop: Header=BB5_270 Depth=1
	s_bcnt1_i32_b32 s49, s49
	s_delay_alu instid0(SALU_CYCLE_1)
	v_mov_b32_e32 v0, s49
	global_wb scope:SCOPE_SYS
	s_wait_loadcnt 0x0
	s_wait_storecnt 0x0
	global_atomic_add_u64 v[16:17], v[0:1], off offset:8 scope:SCOPE_SYS
.LBB5_822:                              ;   in Loop: Header=BB5_270 Depth=1
	s_wait_xcnt 0x0
	s_or_b32 exec_lo, exec_lo, s48
	s_wait_loadcnt 0x0
	global_load_b64 v[18:19], v[16:17], off offset:16
	s_wait_loadcnt 0x0
	v_cmp_eq_u64_e32 vcc_lo, 0, v[18:19]
	s_cbranch_vccnz .LBB5_824
; %bb.823:                              ;   in Loop: Header=BB5_270 Depth=1
	global_load_b32 v0, v[16:17], off offset:24
	s_wait_loadcnt 0x0
	v_readfirstlane_b32 s48, v0
	global_wb scope:SCOPE_SYS
	s_wait_storecnt 0x0
	s_wait_xcnt 0x0
	global_store_b64 v[18:19], v[0:1], off scope:SCOPE_SYS
	s_and_b32 m0, s48, 0xffffff
	s_sendmsg sendmsg(MSG_INTERRUPT)
.LBB5_824:                              ;   in Loop: Header=BB5_270 Depth=1
	s_wait_xcnt 0x0
	s_or_b32 exec_lo, exec_lo, s3
	s_branch .LBB5_828
.LBB5_825:                              ;   in Loop: Header=BB5_828 Depth=2
	s_wait_xcnt 0x0
	s_or_b32 exec_lo, exec_lo, s3
	s_delay_alu instid0(VALU_DEP_1)
	v_readfirstlane_b32 s3, v0
	s_cmp_eq_u32 s3, 0
	s_cbranch_scc1 .LBB5_827
; %bb.826:                              ;   in Loop: Header=BB5_828 Depth=2
	s_sleep 1
	s_cbranch_execnz .LBB5_828
	s_branch .LBB5_830
.LBB5_827:                              ;   in Loop: Header=BB5_270 Depth=1
	s_branch .LBB5_830
.LBB5_828:                              ;   Parent Loop BB5_270 Depth=1
                                        ; =>  This Inner Loop Header: Depth=2
	v_mov_b32_e32 v0, 1
	s_and_saveexec_b32 s3, s2
	s_cbranch_execz .LBB5_825
; %bb.829:                              ;   in Loop: Header=BB5_828 Depth=2
	global_load_b32 v0, v[6:7], off offset:20 scope:SCOPE_SYS
	s_wait_loadcnt 0x0
	global_inv scope:SCOPE_SYS
	v_and_b32_e32 v0, 1, v0
	s_branch .LBB5_825
.LBB5_830:                              ;   in Loop: Header=BB5_270 Depth=1
	s_and_saveexec_b32 s48, s2
	s_cbranch_execz .LBB5_834
; %bb.831:                              ;   in Loop: Header=BB5_270 Depth=1
	s_clause 0x2
	global_load_b64 v[6:7], v1, s[34:35] offset:40
	global_load_b64 v[20:21], v1, s[34:35] offset:24 scope:SCOPE_SYS
	global_load_b64 v[16:17], v1, s[34:35]
	s_wait_loadcnt 0x2
	v_readfirstlane_b32 s50, v6
	v_readfirstlane_b32 s51, v7
	s_add_nc_u64 s[2:3], s[50:51], 1
	s_delay_alu instid0(SALU_CYCLE_1) | instskip(NEXT) | instid1(SALU_CYCLE_1)
	s_add_nc_u64 s[46:47], s[2:3], s[46:47]
	s_cmp_eq_u64 s[46:47], 0
	s_cselect_b32 s3, s3, s47
	s_cselect_b32 s2, s2, s46
	s_delay_alu instid0(SALU_CYCLE_1) | instskip(SKIP_1) | instid1(SALU_CYCLE_1)
	v_dual_mov_b32 v19, s3 :: v_dual_mov_b32 v18, s2
	s_and_b64 s[46:47], s[2:3], s[50:51]
	s_mul_u64 s[46:47], s[46:47], 24
	s_wait_loadcnt 0x0
	v_add_nc_u64_e32 v[6:7], s[46:47], v[16:17]
	global_store_b64 v[6:7], v[20:21], off
	global_wb scope:SCOPE_SYS
	s_wait_storecnt 0x0
	s_wait_xcnt 0x0
	global_atomic_cmpswap_b64 v[18:19], v1, v[18:21], s[34:35] offset:24 th:TH_ATOMIC_RETURN scope:SCOPE_SYS
	s_wait_loadcnt 0x0
	v_cmp_ne_u64_e32 vcc_lo, v[18:19], v[20:21]
	s_and_b32 exec_lo, exec_lo, vcc_lo
	s_cbranch_execz .LBB5_834
; %bb.832:                              ;   in Loop: Header=BB5_270 Depth=1
	s_mov_b32 s46, 0
.LBB5_833:                              ;   Parent Loop BB5_270 Depth=1
                                        ; =>  This Inner Loop Header: Depth=2
	v_dual_mov_b32 v16, s2 :: v_dual_mov_b32 v17, s3
	s_sleep 1
	global_store_b64 v[6:7], v[18:19], off
	global_wb scope:SCOPE_SYS
	s_wait_storecnt 0x0
	s_wait_xcnt 0x0
	global_atomic_cmpswap_b64 v[16:17], v1, v[16:19], s[34:35] offset:24 th:TH_ATOMIC_RETURN scope:SCOPE_SYS
	s_wait_loadcnt 0x0
	v_cmp_eq_u64_e32 vcc_lo, v[16:17], v[18:19]
	v_mov_b64_e32 v[18:19], v[16:17]
	s_or_b32 s46, vcc_lo, s46
	s_delay_alu instid0(SALU_CYCLE_1)
	s_and_not1_b32 exec_lo, exec_lo, s46
	s_cbranch_execnz .LBB5_833
.LBB5_834:                              ;   in Loop: Header=BB5_270 Depth=1
	s_or_b32 exec_lo, exec_lo, s48
.LBB5_835:                              ;   in Loop: Header=BB5_270 Depth=1
	s_add_nc_u64 s[2:3], s[26:27], s[44:45]
	global_load_b32 v0, v1, s[2:3]
	s_wait_loadcnt 0x0
	v_cmp_eq_u32_e32 vcc_lo, -1, v0
	v_readfirstlane_b32 s60, v0
	s_cbranch_vccnz .LBB5_941
; %bb.836:                              ;   in Loop: Header=BB5_270 Depth=1
	s_wait_xcnt 0x0
	v_readfirstlane_b32 s2, v56
	v_mov_b64_e32 v[6:7], 0
	s_delay_alu instid0(VALU_DEP_2)
	v_cmp_eq_u32_e64 s2, s2, v56
	s_and_saveexec_b32 s3, s2
	s_cbranch_execz .LBB5_842
; %bb.837:                              ;   in Loop: Header=BB5_270 Depth=1
	global_load_b64 v[18:19], v1, s[34:35] offset:24 scope:SCOPE_SYS
	s_wait_loadcnt 0x0
	global_inv scope:SCOPE_SYS
	s_clause 0x1
	global_load_b64 v[6:7], v1, s[34:35] offset:40
	global_load_b64 v[16:17], v1, s[34:35]
	s_mov_b32 s46, exec_lo
	s_wait_loadcnt 0x1
	v_and_b32_e32 v6, v6, v18
	v_and_b32_e32 v7, v7, v19
	s_delay_alu instid0(VALU_DEP_1) | instskip(SKIP_1) | instid1(VALU_DEP_1)
	v_mul_u64_e32 v[6:7], 24, v[6:7]
	s_wait_loadcnt 0x0
	v_add_nc_u64_e32 v[6:7], v[16:17], v[6:7]
	global_load_b64 v[16:17], v[6:7], off scope:SCOPE_SYS
	s_wait_xcnt 0x0
	s_wait_loadcnt 0x0
	global_atomic_cmpswap_b64 v[6:7], v1, v[16:19], s[34:35] offset:24 th:TH_ATOMIC_RETURN scope:SCOPE_SYS
	s_wait_loadcnt 0x0
	global_inv scope:SCOPE_SYS
	s_wait_xcnt 0x0
	v_cmpx_ne_u64_e64 v[6:7], v[18:19]
	s_cbranch_execz .LBB5_841
; %bb.838:                              ;   in Loop: Header=BB5_270 Depth=1
	s_mov_b32 s47, 0
.LBB5_839:                              ;   Parent Loop BB5_270 Depth=1
                                        ; =>  This Inner Loop Header: Depth=2
	s_sleep 1
	s_clause 0x1
	global_load_b64 v[16:17], v1, s[34:35] offset:40
	global_load_b64 v[20:21], v1, s[34:35]
	v_mov_b64_e32 v[18:19], v[6:7]
	s_wait_loadcnt 0x1
	s_delay_alu instid0(VALU_DEP_1) | instskip(SKIP_1) | instid1(VALU_DEP_1)
	v_and_b32_e32 v0, v16, v18
	s_wait_loadcnt 0x0
	v_mad_nc_u64_u32 v[6:7], v0, 24, v[20:21]
	s_delay_alu instid0(VALU_DEP_3) | instskip(NEXT) | instid1(VALU_DEP_1)
	v_and_b32_e32 v0, v17, v19
	v_mad_u32 v7, v0, 24, v7
	global_load_b64 v[16:17], v[6:7], off scope:SCOPE_SYS
	s_wait_xcnt 0x0
	s_wait_loadcnt 0x0
	global_atomic_cmpswap_b64 v[6:7], v1, v[16:19], s[34:35] offset:24 th:TH_ATOMIC_RETURN scope:SCOPE_SYS
	s_wait_loadcnt 0x0
	global_inv scope:SCOPE_SYS
	v_cmp_eq_u64_e32 vcc_lo, v[6:7], v[18:19]
	s_or_b32 s47, vcc_lo, s47
	s_wait_xcnt 0x0
	s_and_not1_b32 exec_lo, exec_lo, s47
	s_cbranch_execnz .LBB5_839
; %bb.840:                              ;   in Loop: Header=BB5_270 Depth=1
	s_or_b32 exec_lo, exec_lo, s47
.LBB5_841:                              ;   in Loop: Header=BB5_270 Depth=1
	s_delay_alu instid0(SALU_CYCLE_1)
	s_or_b32 exec_lo, exec_lo, s46
.LBB5_842:                              ;   in Loop: Header=BB5_270 Depth=1
	s_delay_alu instid0(SALU_CYCLE_1)
	s_or_b32 exec_lo, exec_lo, s3
	s_clause 0x1
	global_load_b64 v[20:21], v1, s[34:35] offset:40
	global_load_b128 v[16:19], v1, s[34:35]
	v_readfirstlane_b32 s46, v6
	v_readfirstlane_b32 s47, v7
	s_mov_b32 s3, exec_lo
	s_wait_loadcnt 0x1
	v_and_b32_e32 v6, s46, v20
	v_and_b32_e32 v7, s47, v21
	s_delay_alu instid0(VALU_DEP_1) | instskip(SKIP_1) | instid1(VALU_DEP_1)
	v_mul_u64_e32 v[20:21], 24, v[6:7]
	s_wait_loadcnt 0x0
	v_add_nc_u64_e32 v[20:21], v[16:17], v[20:21]
	s_wait_xcnt 0x0
	s_and_saveexec_b32 s48, s2
	s_cbranch_execz .LBB5_844
; %bb.843:                              ;   in Loop: Header=BB5_270 Depth=1
	v_mov_b32_e32 v0, s3
	global_store_b128 v[20:21], v[0:3], off offset:8
.LBB5_844:                              ;   in Loop: Header=BB5_270 Depth=1
	s_wait_xcnt 0x0
	s_or_b32 exec_lo, exec_lo, s48
	v_lshlrev_b64_e32 v[6:7], 12, v[6:7]
	v_mov_b64_e32 v[26:27], s[6:7]
	v_mov_b64_e32 v[24:25], s[4:5]
	v_mov_b32_e32 v5, v1
	s_delay_alu instid0(VALU_DEP_4) | instskip(SKIP_1) | instid1(VALU_DEP_2)
	v_add_nc_u64_e32 v[22:23], v[18:19], v[6:7]
	v_dual_mov_b32 v6, v1 :: v_dual_mov_b32 v7, v1
	v_readfirstlane_b32 s48, v22
	s_delay_alu instid0(VALU_DEP_3)
	v_readfirstlane_b32 s49, v23
	s_clause 0x3
	global_store_b128 v42, v[4:7], s[48:49]
	global_store_b128 v42, v[24:27], s[48:49] offset:16
	global_store_b128 v42, v[24:27], s[48:49] offset:32
	global_store_b128 v42, v[24:27], s[48:49] offset:48
	s_wait_xcnt 0x0
	s_and_saveexec_b32 s3, s2
	s_cbranch_execz .LBB5_852
; %bb.845:                              ;   in Loop: Header=BB5_270 Depth=1
	s_clause 0x1
	global_load_b64 v[26:27], v1, s[34:35] offset:32 scope:SCOPE_SYS
	global_load_b64 v[6:7], v1, s[34:35] offset:40
	s_mov_b32 s48, exec_lo
	v_dual_mov_b32 v24, s46 :: v_dual_mov_b32 v25, s47
	s_wait_loadcnt 0x0
	v_and_b32_e32 v7, s47, v7
	v_and_b32_e32 v6, s46, v6
	s_delay_alu instid0(VALU_DEP_1) | instskip(NEXT) | instid1(VALU_DEP_1)
	v_mul_u64_e32 v[6:7], 24, v[6:7]
	v_add_nc_u64_e32 v[6:7], v[16:17], v[6:7]
	global_store_b64 v[6:7], v[26:27], off
	global_wb scope:SCOPE_SYS
	s_wait_storecnt 0x0
	s_wait_xcnt 0x0
	global_atomic_cmpswap_b64 v[18:19], v1, v[24:27], s[34:35] offset:32 th:TH_ATOMIC_RETURN scope:SCOPE_SYS
	s_wait_loadcnt 0x0
	v_cmpx_ne_u64_e64 v[18:19], v[26:27]
	s_cbranch_execz .LBB5_848
; %bb.846:                              ;   in Loop: Header=BB5_270 Depth=1
	s_mov_b32 s49, 0
.LBB5_847:                              ;   Parent Loop BB5_270 Depth=1
                                        ; =>  This Inner Loop Header: Depth=2
	v_dual_mov_b32 v16, s46 :: v_dual_mov_b32 v17, s47
	s_sleep 1
	global_store_b64 v[6:7], v[18:19], off
	global_wb scope:SCOPE_SYS
	s_wait_storecnt 0x0
	s_wait_xcnt 0x0
	global_atomic_cmpswap_b64 v[16:17], v1, v[16:19], s[34:35] offset:32 th:TH_ATOMIC_RETURN scope:SCOPE_SYS
	s_wait_loadcnt 0x0
	v_cmp_eq_u64_e32 vcc_lo, v[16:17], v[18:19]
	v_mov_b64_e32 v[18:19], v[16:17]
	s_or_b32 s49, vcc_lo, s49
	s_delay_alu instid0(SALU_CYCLE_1)
	s_and_not1_b32 exec_lo, exec_lo, s49
	s_cbranch_execnz .LBB5_847
.LBB5_848:                              ;   in Loop: Header=BB5_270 Depth=1
	s_or_b32 exec_lo, exec_lo, s48
	global_load_b64 v[6:7], v1, s[34:35] offset:16
	s_mov_b32 s49, exec_lo
	s_mov_b32 s48, exec_lo
	v_mbcnt_lo_u32_b32 v0, s49, 0
	s_wait_xcnt 0x0
	s_delay_alu instid0(VALU_DEP_1)
	v_cmpx_eq_u32_e32 0, v0
	s_cbranch_execz .LBB5_850
; %bb.849:                              ;   in Loop: Header=BB5_270 Depth=1
	s_bcnt1_i32_b32 s49, s49
	s_delay_alu instid0(SALU_CYCLE_1)
	v_mov_b32_e32 v0, s49
	global_wb scope:SCOPE_SYS
	s_wait_loadcnt 0x0
	s_wait_storecnt 0x0
	global_atomic_add_u64 v[6:7], v[0:1], off offset:8 scope:SCOPE_SYS
.LBB5_850:                              ;   in Loop: Header=BB5_270 Depth=1
	s_wait_xcnt 0x0
	s_or_b32 exec_lo, exec_lo, s48
	s_wait_loadcnt 0x0
	global_load_b64 v[16:17], v[6:7], off offset:16
	s_wait_loadcnt 0x0
	v_cmp_eq_u64_e32 vcc_lo, 0, v[16:17]
	s_cbranch_vccnz .LBB5_852
; %bb.851:                              ;   in Loop: Header=BB5_270 Depth=1
	global_load_b32 v0, v[6:7], off offset:24
	s_wait_loadcnt 0x0
	v_readfirstlane_b32 s48, v0
	global_wb scope:SCOPE_SYS
	s_wait_storecnt 0x0
	s_wait_xcnt 0x0
	global_store_b64 v[16:17], v[0:1], off scope:SCOPE_SYS
	s_and_b32 m0, s48, 0xffffff
	s_sendmsg sendmsg(MSG_INTERRUPT)
.LBB5_852:                              ;   in Loop: Header=BB5_270 Depth=1
	s_wait_xcnt 0x0
	s_or_b32 exec_lo, exec_lo, s3
	v_mov_b32_e32 v43, v1
	s_delay_alu instid0(VALU_DEP_1)
	v_add_nc_u64_e32 v[6:7], v[22:23], v[42:43]
	s_branch .LBB5_856
.LBB5_853:                              ;   in Loop: Header=BB5_856 Depth=2
	s_wait_xcnt 0x0
	s_or_b32 exec_lo, exec_lo, s3
	s_delay_alu instid0(VALU_DEP_1)
	v_readfirstlane_b32 s3, v0
	s_cmp_eq_u32 s3, 0
	s_cbranch_scc1 .LBB5_855
; %bb.854:                              ;   in Loop: Header=BB5_856 Depth=2
	s_sleep 1
	s_cbranch_execnz .LBB5_856
	s_branch .LBB5_858
.LBB5_855:                              ;   in Loop: Header=BB5_270 Depth=1
	s_branch .LBB5_858
.LBB5_856:                              ;   Parent Loop BB5_270 Depth=1
                                        ; =>  This Inner Loop Header: Depth=2
	v_mov_b32_e32 v0, 1
	s_and_saveexec_b32 s3, s2
	s_cbranch_execz .LBB5_853
; %bb.857:                              ;   in Loop: Header=BB5_856 Depth=2
	global_load_b32 v0, v[20:21], off offset:20 scope:SCOPE_SYS
	s_wait_loadcnt 0x0
	global_inv scope:SCOPE_SYS
	v_and_b32_e32 v0, 1, v0
	s_branch .LBB5_853
.LBB5_858:                              ;   in Loop: Header=BB5_270 Depth=1
	global_load_b64 v[20:21], v[6:7], off
	s_wait_xcnt 0x0
	s_and_saveexec_b32 s48, s2
	s_cbranch_execz .LBB5_862
; %bb.859:                              ;   in Loop: Header=BB5_270 Depth=1
	s_clause 0x2
	global_load_b64 v[6:7], v1, s[34:35] offset:40
	global_load_b64 v[24:25], v1, s[34:35] offset:24 scope:SCOPE_SYS
	global_load_b64 v[16:17], v1, s[34:35]
	s_wait_loadcnt 0x2
	v_readfirstlane_b32 s50, v6
	v_readfirstlane_b32 s51, v7
	s_add_nc_u64 s[2:3], s[50:51], 1
	s_delay_alu instid0(SALU_CYCLE_1) | instskip(NEXT) | instid1(SALU_CYCLE_1)
	s_add_nc_u64 s[46:47], s[2:3], s[46:47]
	s_cmp_eq_u64 s[46:47], 0
	s_cselect_b32 s3, s3, s47
	s_cselect_b32 s2, s2, s46
	s_delay_alu instid0(SALU_CYCLE_1) | instskip(SKIP_1) | instid1(SALU_CYCLE_1)
	v_dual_mov_b32 v23, s3 :: v_dual_mov_b32 v22, s2
	s_and_b64 s[46:47], s[2:3], s[50:51]
	s_mul_u64 s[46:47], s[46:47], 24
	s_wait_loadcnt 0x0
	v_add_nc_u64_e32 v[6:7], s[46:47], v[16:17]
	global_store_b64 v[6:7], v[24:25], off
	global_wb scope:SCOPE_SYS
	s_wait_storecnt 0x0
	s_wait_xcnt 0x0
	global_atomic_cmpswap_b64 v[18:19], v1, v[22:25], s[34:35] offset:24 th:TH_ATOMIC_RETURN scope:SCOPE_SYS
	s_wait_loadcnt 0x0
	v_cmp_ne_u64_e32 vcc_lo, v[18:19], v[24:25]
	s_and_b32 exec_lo, exec_lo, vcc_lo
	s_cbranch_execz .LBB5_862
; %bb.860:                              ;   in Loop: Header=BB5_270 Depth=1
	s_mov_b32 s46, 0
.LBB5_861:                              ;   Parent Loop BB5_270 Depth=1
                                        ; =>  This Inner Loop Header: Depth=2
	v_dual_mov_b32 v16, s2 :: v_dual_mov_b32 v17, s3
	s_sleep 1
	global_store_b64 v[6:7], v[18:19], off
	global_wb scope:SCOPE_SYS
	s_wait_storecnt 0x0
	s_wait_xcnt 0x0
	global_atomic_cmpswap_b64 v[16:17], v1, v[16:19], s[34:35] offset:24 th:TH_ATOMIC_RETURN scope:SCOPE_SYS
	s_wait_loadcnt 0x0
	v_cmp_eq_u64_e32 vcc_lo, v[16:17], v[18:19]
	v_mov_b64_e32 v[18:19], v[16:17]
	s_or_b32 s46, vcc_lo, s46
	s_delay_alu instid0(SALU_CYCLE_1)
	s_and_not1_b32 exec_lo, exec_lo, s46
	s_cbranch_execnz .LBB5_861
.LBB5_862:                              ;   in Loop: Header=BB5_270 Depth=1
	s_or_b32 exec_lo, exec_lo, s48
	s_delay_alu instid0(SALU_CYCLE_1)
	s_and_b32 vcc_lo, exec_lo, s56
	s_cbranch_vccz .LBB5_942
; %bb.863:                              ;   in Loop: Header=BB5_270 Depth=1
	s_wait_loadcnt 0x0
	v_dual_mov_b32 v17, v21 :: v_dual_bitop2_b32 v6, 2, v20 bitop3:0x40
	v_and_b32_e32 v16, -3, v20
	s_mov_b64 s[46:47], 6
	s_mov_b64 s[48:49], s[8:9]
	s_branch .LBB5_865
.LBB5_864:                              ;   in Loop: Header=BB5_865 Depth=2
	s_or_b32 exec_lo, exec_lo, s54
	s_sub_nc_u64 s[46:47], s[46:47], s[50:51]
	s_add_nc_u64 s[48:49], s[48:49], s[50:51]
	s_cmp_lg_u64 s[46:47], 0
	s_cbranch_scc0 .LBB5_940
.LBB5_865:                              ;   Parent Loop BB5_270 Depth=1
                                        ; =>  This Loop Header: Depth=2
                                        ;       Child Loop BB5_868 Depth 3
                                        ;       Child Loop BB5_875 Depth 3
	;; [unrolled: 1-line block ×11, first 2 shown]
	v_min_u64 v[18:19], s[46:47], 56
	v_cmp_gt_u64_e64 s2, s[46:47], 7
	s_and_b32 vcc_lo, exec_lo, s2
	v_readfirstlane_b32 s50, v18
	v_readfirstlane_b32 s51, v19
	s_cbranch_vccnz .LBB5_870
; %bb.866:                              ;   in Loop: Header=BB5_865 Depth=2
	v_mov_b64_e32 v[18:19], 0
	s_cmp_eq_u64 s[46:47], 0
	s_cbranch_scc1 .LBB5_869
; %bb.867:                              ;   in Loop: Header=BB5_865 Depth=2
	s_mov_b64 s[2:3], 0
	s_mov_b64 s[52:53], 0
.LBB5_868:                              ;   Parent Loop BB5_270 Depth=1
                                        ;     Parent Loop BB5_865 Depth=2
                                        ; =>    This Inner Loop Header: Depth=3
	s_wait_xcnt 0x0
	s_add_nc_u64 s[54:55], s[48:49], s[52:53]
	s_add_nc_u64 s[52:53], s[52:53], 1
	global_load_u8 v0, v1, s[54:55]
	s_cmp_lg_u32 s50, s52
	s_wait_loadcnt 0x0
	v_and_b32_e32 v0, 0xffff, v0
	s_delay_alu instid0(VALU_DEP_1) | instskip(SKIP_1) | instid1(VALU_DEP_1)
	v_lshlrev_b64_e32 v[22:23], s2, v[0:1]
	s_add_nc_u64 s[2:3], s[2:3], 8
	v_or_b32_e32 v18, v22, v18
	s_delay_alu instid0(VALU_DEP_2)
	v_or_b32_e32 v19, v23, v19
	s_cbranch_scc1 .LBB5_868
.LBB5_869:                              ;   in Loop: Header=BB5_865 Depth=2
	s_mov_b64 s[2:3], s[48:49]
	s_mov_b32 s61, 0
	s_cbranch_execz .LBB5_871
	s_branch .LBB5_872
.LBB5_870:                              ;   in Loop: Header=BB5_865 Depth=2
	s_add_nc_u64 s[2:3], s[48:49], 8
	s_mov_b32 s61, 0
.LBB5_871:                              ;   in Loop: Header=BB5_865 Depth=2
	global_load_b64 v[18:19], v1, s[48:49]
	s_add_co_i32 s61, s50, -8
.LBB5_872:                              ;   in Loop: Header=BB5_865 Depth=2
	s_delay_alu instid0(SALU_CYCLE_1)
	s_cmp_gt_u32 s61, 7
	s_cbranch_scc1 .LBB5_877
; %bb.873:                              ;   in Loop: Header=BB5_865 Depth=2
	v_mov_b64_e32 v[22:23], 0
	s_cmp_eq_u32 s61, 0
	s_cbranch_scc1 .LBB5_876
; %bb.874:                              ;   in Loop: Header=BB5_865 Depth=2
	s_mov_b64 s[52:53], 0
	s_wait_xcnt 0x0
	s_mov_b64 s[54:55], 0
.LBB5_875:                              ;   Parent Loop BB5_270 Depth=1
                                        ;     Parent Loop BB5_865 Depth=2
                                        ; =>    This Inner Loop Header: Depth=3
	s_wait_xcnt 0x0
	s_add_nc_u64 s[62:63], s[2:3], s[54:55]
	s_add_nc_u64 s[54:55], s[54:55], 1
	global_load_u8 v0, v1, s[62:63]
	s_cmp_lg_u32 s61, s54
	s_wait_loadcnt 0x0
	v_and_b32_e32 v0, 0xffff, v0
	s_delay_alu instid0(VALU_DEP_1) | instskip(SKIP_1) | instid1(VALU_DEP_1)
	v_lshlrev_b64_e32 v[24:25], s52, v[0:1]
	s_add_nc_u64 s[52:53], s[52:53], 8
	v_or_b32_e32 v22, v24, v22
	s_delay_alu instid0(VALU_DEP_2)
	v_or_b32_e32 v23, v25, v23
	s_cbranch_scc1 .LBB5_875
.LBB5_876:                              ;   in Loop: Header=BB5_865 Depth=2
	s_wait_xcnt 0x0
	s_mov_b64 s[52:53], s[2:3]
	s_mov_b32 s62, 0
	s_cbranch_execz .LBB5_878
	s_branch .LBB5_879
.LBB5_877:                              ;   in Loop: Header=BB5_865 Depth=2
	s_add_nc_u64 s[52:53], s[2:3], 8
	s_wait_xcnt 0x0
                                        ; implicit-def: $vgpr22_vgpr23
	s_mov_b32 s62, 0
.LBB5_878:                              ;   in Loop: Header=BB5_865 Depth=2
	global_load_b64 v[22:23], v1, s[2:3]
	s_add_co_i32 s62, s61, -8
.LBB5_879:                              ;   in Loop: Header=BB5_865 Depth=2
	s_delay_alu instid0(SALU_CYCLE_1)
	s_cmp_gt_u32 s62, 7
	s_cbranch_scc1 .LBB5_884
; %bb.880:                              ;   in Loop: Header=BB5_865 Depth=2
	v_mov_b64_e32 v[24:25], 0
	s_cmp_eq_u32 s62, 0
	s_cbranch_scc1 .LBB5_883
; %bb.881:                              ;   in Loop: Header=BB5_865 Depth=2
	s_wait_xcnt 0x0
	s_mov_b64 s[2:3], 0
	s_mov_b64 s[54:55], 0
.LBB5_882:                              ;   Parent Loop BB5_270 Depth=1
                                        ;     Parent Loop BB5_865 Depth=2
                                        ; =>    This Inner Loop Header: Depth=3
	s_wait_xcnt 0x0
	s_add_nc_u64 s[64:65], s[52:53], s[54:55]
	s_add_nc_u64 s[54:55], s[54:55], 1
	global_load_u8 v0, v1, s[64:65]
	s_cmp_lg_u32 s62, s54
	s_wait_loadcnt 0x0
	v_and_b32_e32 v0, 0xffff, v0
	s_delay_alu instid0(VALU_DEP_1) | instskip(SKIP_1) | instid1(VALU_DEP_1)
	v_lshlrev_b64_e32 v[26:27], s2, v[0:1]
	s_add_nc_u64 s[2:3], s[2:3], 8
	v_or_b32_e32 v24, v26, v24
	s_delay_alu instid0(VALU_DEP_2)
	v_or_b32_e32 v25, v27, v25
	s_cbranch_scc1 .LBB5_882
.LBB5_883:                              ;   in Loop: Header=BB5_865 Depth=2
	s_wait_xcnt 0x0
	s_mov_b64 s[2:3], s[52:53]
	s_mov_b32 s61, 0
	s_cbranch_execz .LBB5_885
	s_branch .LBB5_886
.LBB5_884:                              ;   in Loop: Header=BB5_865 Depth=2
	s_wait_xcnt 0x0
	s_add_nc_u64 s[2:3], s[52:53], 8
	s_mov_b32 s61, 0
.LBB5_885:                              ;   in Loop: Header=BB5_865 Depth=2
	global_load_b64 v[24:25], v1, s[52:53]
	s_add_co_i32 s61, s62, -8
.LBB5_886:                              ;   in Loop: Header=BB5_865 Depth=2
	s_delay_alu instid0(SALU_CYCLE_1)
	s_cmp_gt_u32 s61, 7
	s_cbranch_scc1 .LBB5_891
; %bb.887:                              ;   in Loop: Header=BB5_865 Depth=2
	v_mov_b64_e32 v[26:27], 0
	s_cmp_eq_u32 s61, 0
	s_cbranch_scc1 .LBB5_890
; %bb.888:                              ;   in Loop: Header=BB5_865 Depth=2
	s_wait_xcnt 0x0
	s_mov_b64 s[52:53], 0
	s_mov_b64 s[54:55], 0
.LBB5_889:                              ;   Parent Loop BB5_270 Depth=1
                                        ;     Parent Loop BB5_865 Depth=2
                                        ; =>    This Inner Loop Header: Depth=3
	s_wait_xcnt 0x0
	s_add_nc_u64 s[62:63], s[2:3], s[54:55]
	s_add_nc_u64 s[54:55], s[54:55], 1
	global_load_u8 v0, v1, s[62:63]
	s_cmp_lg_u32 s61, s54
	s_wait_loadcnt 0x0
	v_and_b32_e32 v0, 0xffff, v0
	s_delay_alu instid0(VALU_DEP_1) | instskip(SKIP_1) | instid1(VALU_DEP_1)
	v_lshlrev_b64_e32 v[28:29], s52, v[0:1]
	s_add_nc_u64 s[52:53], s[52:53], 8
	v_or_b32_e32 v26, v28, v26
	s_delay_alu instid0(VALU_DEP_2)
	v_or_b32_e32 v27, v29, v27
	s_cbranch_scc1 .LBB5_889
.LBB5_890:                              ;   in Loop: Header=BB5_865 Depth=2
	s_wait_xcnt 0x0
	s_mov_b64 s[52:53], s[2:3]
	s_mov_b32 s62, 0
	s_cbranch_execz .LBB5_892
	s_branch .LBB5_893
.LBB5_891:                              ;   in Loop: Header=BB5_865 Depth=2
	s_wait_xcnt 0x0
	s_add_nc_u64 s[52:53], s[2:3], 8
                                        ; implicit-def: $vgpr26_vgpr27
	s_mov_b32 s62, 0
.LBB5_892:                              ;   in Loop: Header=BB5_865 Depth=2
	global_load_b64 v[26:27], v1, s[2:3]
	s_add_co_i32 s62, s61, -8
.LBB5_893:                              ;   in Loop: Header=BB5_865 Depth=2
	s_delay_alu instid0(SALU_CYCLE_1)
	s_cmp_gt_u32 s62, 7
	s_cbranch_scc1 .LBB5_898
; %bb.894:                              ;   in Loop: Header=BB5_865 Depth=2
	v_mov_b64_e32 v[28:29], 0
	s_cmp_eq_u32 s62, 0
	s_cbranch_scc1 .LBB5_897
; %bb.895:                              ;   in Loop: Header=BB5_865 Depth=2
	s_wait_xcnt 0x0
	s_mov_b64 s[2:3], 0
	s_mov_b64 s[54:55], 0
.LBB5_896:                              ;   Parent Loop BB5_270 Depth=1
                                        ;     Parent Loop BB5_865 Depth=2
                                        ; =>    This Inner Loop Header: Depth=3
	s_wait_xcnt 0x0
	s_add_nc_u64 s[64:65], s[52:53], s[54:55]
	s_add_nc_u64 s[54:55], s[54:55], 1
	global_load_u8 v0, v1, s[64:65]
	s_cmp_lg_u32 s62, s54
	s_wait_loadcnt 0x0
	v_and_b32_e32 v0, 0xffff, v0
	s_delay_alu instid0(VALU_DEP_1) | instskip(SKIP_1) | instid1(VALU_DEP_1)
	v_lshlrev_b64_e32 v[30:31], s2, v[0:1]
	s_add_nc_u64 s[2:3], s[2:3], 8
	v_or_b32_e32 v28, v30, v28
	s_delay_alu instid0(VALU_DEP_2)
	v_or_b32_e32 v29, v31, v29
	s_cbranch_scc1 .LBB5_896
.LBB5_897:                              ;   in Loop: Header=BB5_865 Depth=2
	s_wait_xcnt 0x0
	s_mov_b64 s[2:3], s[52:53]
	s_mov_b32 s61, 0
	s_cbranch_execz .LBB5_899
	s_branch .LBB5_900
.LBB5_898:                              ;   in Loop: Header=BB5_865 Depth=2
	s_wait_xcnt 0x0
	s_add_nc_u64 s[2:3], s[52:53], 8
	s_mov_b32 s61, 0
.LBB5_899:                              ;   in Loop: Header=BB5_865 Depth=2
	global_load_b64 v[28:29], v1, s[52:53]
	s_add_co_i32 s61, s62, -8
.LBB5_900:                              ;   in Loop: Header=BB5_865 Depth=2
	s_delay_alu instid0(SALU_CYCLE_1)
	s_cmp_gt_u32 s61, 7
	s_cbranch_scc1 .LBB5_905
; %bb.901:                              ;   in Loop: Header=BB5_865 Depth=2
	v_mov_b64_e32 v[30:31], 0
	s_cmp_eq_u32 s61, 0
	s_cbranch_scc1 .LBB5_904
; %bb.902:                              ;   in Loop: Header=BB5_865 Depth=2
	s_wait_xcnt 0x0
	s_mov_b64 s[52:53], 0
	s_mov_b64 s[54:55], 0
.LBB5_903:                              ;   Parent Loop BB5_270 Depth=1
                                        ;     Parent Loop BB5_865 Depth=2
                                        ; =>    This Inner Loop Header: Depth=3
	s_wait_xcnt 0x0
	s_add_nc_u64 s[62:63], s[2:3], s[54:55]
	s_add_nc_u64 s[54:55], s[54:55], 1
	global_load_u8 v0, v1, s[62:63]
	s_cmp_lg_u32 s61, s54
	s_wait_loadcnt 0x0
	v_and_b32_e32 v0, 0xffff, v0
	s_delay_alu instid0(VALU_DEP_1) | instskip(SKIP_1) | instid1(VALU_DEP_1)
	v_lshlrev_b64_e32 v[32:33], s52, v[0:1]
	s_add_nc_u64 s[52:53], s[52:53], 8
	v_or_b32_e32 v30, v32, v30
	s_delay_alu instid0(VALU_DEP_2)
	v_or_b32_e32 v31, v33, v31
	s_cbranch_scc1 .LBB5_903
.LBB5_904:                              ;   in Loop: Header=BB5_865 Depth=2
	s_wait_xcnt 0x0
	s_mov_b64 s[52:53], s[2:3]
	s_mov_b32 s62, 0
	s_cbranch_execz .LBB5_906
	s_branch .LBB5_907
.LBB5_905:                              ;   in Loop: Header=BB5_865 Depth=2
	s_wait_xcnt 0x0
	s_add_nc_u64 s[52:53], s[2:3], 8
                                        ; implicit-def: $vgpr30_vgpr31
	s_mov_b32 s62, 0
.LBB5_906:                              ;   in Loop: Header=BB5_865 Depth=2
	global_load_b64 v[30:31], v1, s[2:3]
	s_add_co_i32 s62, s61, -8
.LBB5_907:                              ;   in Loop: Header=BB5_865 Depth=2
	s_delay_alu instid0(SALU_CYCLE_1)
	s_cmp_gt_u32 s62, 7
	s_cbranch_scc1 .LBB5_912
; %bb.908:                              ;   in Loop: Header=BB5_865 Depth=2
	v_mov_b64_e32 v[32:33], 0
	s_cmp_eq_u32 s62, 0
	s_cbranch_scc1 .LBB5_911
; %bb.909:                              ;   in Loop: Header=BB5_865 Depth=2
	s_wait_xcnt 0x0
	s_mov_b64 s[2:3], 0
	s_mov_b64 s[54:55], s[52:53]
.LBB5_910:                              ;   Parent Loop BB5_270 Depth=1
                                        ;     Parent Loop BB5_865 Depth=2
                                        ; =>    This Inner Loop Header: Depth=3
	global_load_u8 v0, v1, s[54:55]
	s_add_co_i32 s62, s62, -1
	s_wait_xcnt 0x0
	s_add_nc_u64 s[54:55], s[54:55], 1
	s_cmp_lg_u32 s62, 0
	s_wait_loadcnt 0x0
	v_and_b32_e32 v0, 0xffff, v0
	s_delay_alu instid0(VALU_DEP_1) | instskip(SKIP_1) | instid1(VALU_DEP_1)
	v_lshlrev_b64_e32 v[34:35], s2, v[0:1]
	s_add_nc_u64 s[2:3], s[2:3], 8
	v_or_b32_e32 v32, v34, v32
	s_delay_alu instid0(VALU_DEP_2)
	v_or_b32_e32 v33, v35, v33
	s_cbranch_scc1 .LBB5_910
.LBB5_911:                              ;   in Loop: Header=BB5_865 Depth=2
	s_wait_xcnt 0x0
	s_cbranch_execz .LBB5_913
	s_branch .LBB5_914
.LBB5_912:                              ;   in Loop: Header=BB5_865 Depth=2
	s_wait_xcnt 0x0
.LBB5_913:                              ;   in Loop: Header=BB5_865 Depth=2
	global_load_b64 v[32:33], v1, s[52:53]
.LBB5_914:                              ;   in Loop: Header=BB5_865 Depth=2
	v_readfirstlane_b32 s2, v56
	v_mov_b64_e32 v[38:39], 0
	s_delay_alu instid0(VALU_DEP_2)
	v_cmp_eq_u32_e64 s2, s2, v56
	s_wait_xcnt 0x0
	s_and_saveexec_b32 s3, s2
	s_cbranch_execz .LBB5_920
; %bb.915:                              ;   in Loop: Header=BB5_865 Depth=2
	global_load_b64 v[36:37], v1, s[34:35] offset:24 scope:SCOPE_SYS
	s_wait_loadcnt 0x0
	global_inv scope:SCOPE_SYS
	s_clause 0x1
	global_load_b64 v[34:35], v1, s[34:35] offset:40
	global_load_b64 v[38:39], v1, s[34:35]
	s_mov_b32 s52, exec_lo
	s_wait_loadcnt 0x1
	v_and_b32_e32 v34, v34, v36
	v_and_b32_e32 v35, v35, v37
	s_delay_alu instid0(VALU_DEP_1) | instskip(SKIP_1) | instid1(VALU_DEP_1)
	v_mul_u64_e32 v[34:35], 24, v[34:35]
	s_wait_loadcnt 0x0
	v_add_nc_u64_e32 v[34:35], v[38:39], v[34:35]
	global_load_b64 v[34:35], v[34:35], off scope:SCOPE_SYS
	s_wait_xcnt 0x0
	s_wait_loadcnt 0x0
	global_atomic_cmpswap_b64 v[38:39], v1, v[34:37], s[34:35] offset:24 th:TH_ATOMIC_RETURN scope:SCOPE_SYS
	s_wait_loadcnt 0x0
	global_inv scope:SCOPE_SYS
	s_wait_xcnt 0x0
	v_cmpx_ne_u64_e64 v[38:39], v[36:37]
	s_cbranch_execz .LBB5_919
; %bb.916:                              ;   in Loop: Header=BB5_865 Depth=2
	s_mov_b32 s53, 0
.LBB5_917:                              ;   Parent Loop BB5_270 Depth=1
                                        ;     Parent Loop BB5_865 Depth=2
                                        ; =>    This Inner Loop Header: Depth=3
	s_sleep 1
	s_clause 0x1
	global_load_b64 v[34:35], v1, s[34:35] offset:40
	global_load_b64 v[44:45], v1, s[34:35]
	v_mov_b64_e32 v[36:37], v[38:39]
	s_wait_loadcnt 0x1
	s_delay_alu instid0(VALU_DEP_1) | instskip(SKIP_1) | instid1(VALU_DEP_1)
	v_and_b32_e32 v0, v34, v36
	s_wait_loadcnt 0x0
	v_mad_nc_u64_u32 v[38:39], v0, 24, v[44:45]
	s_delay_alu instid0(VALU_DEP_3) | instskip(NEXT) | instid1(VALU_DEP_1)
	v_and_b32_e32 v0, v35, v37
	v_mad_u32 v39, v0, 24, v39
	global_load_b64 v[34:35], v[38:39], off scope:SCOPE_SYS
	s_wait_xcnt 0x0
	s_wait_loadcnt 0x0
	global_atomic_cmpswap_b64 v[38:39], v1, v[34:37], s[34:35] offset:24 th:TH_ATOMIC_RETURN scope:SCOPE_SYS
	s_wait_loadcnt 0x0
	global_inv scope:SCOPE_SYS
	v_cmp_eq_u64_e32 vcc_lo, v[38:39], v[36:37]
	s_or_b32 s53, vcc_lo, s53
	s_wait_xcnt 0x0
	s_and_not1_b32 exec_lo, exec_lo, s53
	s_cbranch_execnz .LBB5_917
; %bb.918:                              ;   in Loop: Header=BB5_865 Depth=2
	s_or_b32 exec_lo, exec_lo, s53
.LBB5_919:                              ;   in Loop: Header=BB5_865 Depth=2
	s_delay_alu instid0(SALU_CYCLE_1)
	s_or_b32 exec_lo, exec_lo, s52
.LBB5_920:                              ;   in Loop: Header=BB5_865 Depth=2
	s_delay_alu instid0(SALU_CYCLE_1)
	s_or_b32 exec_lo, exec_lo, s3
	s_clause 0x1
	global_load_b64 v[44:45], v1, s[34:35] offset:40
	global_load_b128 v[34:37], v1, s[34:35]
	v_readfirstlane_b32 s52, v38
	v_readfirstlane_b32 s53, v39
	s_mov_b32 s3, exec_lo
	s_wait_loadcnt 0x1
	v_and_b32_e32 v44, s52, v44
	v_and_b32_e32 v45, s53, v45
	s_delay_alu instid0(VALU_DEP_1) | instskip(SKIP_1) | instid1(VALU_DEP_1)
	v_mul_u64_e32 v[38:39], 24, v[44:45]
	s_wait_loadcnt 0x0
	v_add_nc_u64_e32 v[38:39], v[34:35], v[38:39]
	s_wait_xcnt 0x0
	s_and_saveexec_b32 s54, s2
	s_cbranch_execz .LBB5_922
; %bb.921:                              ;   in Loop: Header=BB5_865 Depth=2
	v_mov_b32_e32 v0, s3
	global_store_b128 v[38:39], v[0:3], off offset:8
.LBB5_922:                              ;   in Loop: Header=BB5_865 Depth=2
	s_wait_xcnt 0x0
	s_or_b32 exec_lo, exec_lo, s54
	v_cmp_lt_u64_e64 vcc_lo, s[46:47], 57
	v_lshlrev_b64_e32 v[44:45], 12, v[44:45]
	v_and_b32_e32 v5, 0xffffff1f, v16
	s_lshl_b32 s3, s50, 2
	s_delay_alu instid0(SALU_CYCLE_1) | instskip(SKIP_1) | instid1(VALU_DEP_3)
	s_add_co_i32 s3, s3, 28
	v_cndmask_b32_e32 v0, 0, v6, vcc_lo
	v_add_nc_u64_e32 v[36:37], v[36:37], v[44:45]
	s_delay_alu instid0(VALU_DEP_2) | instskip(NEXT) | instid1(VALU_DEP_2)
	v_or_b32_e32 v0, v5, v0
	v_readfirstlane_b32 s54, v36
	s_delay_alu instid0(VALU_DEP_3) | instskip(NEXT) | instid1(VALU_DEP_3)
	v_readfirstlane_b32 s55, v37
	v_and_or_b32 v16, 0x1e0, s3, v0
	s_clause 0x3
	global_store_b128 v42, v[16:19], s[54:55]
	global_store_b128 v42, v[22:25], s[54:55] offset:16
	global_store_b128 v42, v[26:29], s[54:55] offset:32
	;; [unrolled: 1-line block ×3, first 2 shown]
	s_wait_xcnt 0x0
	s_and_saveexec_b32 s3, s2
	s_cbranch_execz .LBB5_930
; %bb.923:                              ;   in Loop: Header=BB5_865 Depth=2
	s_clause 0x1
	global_load_b64 v[26:27], v1, s[34:35] offset:32 scope:SCOPE_SYS
	global_load_b64 v[16:17], v1, s[34:35] offset:40
	s_mov_b32 s54, exec_lo
	v_dual_mov_b32 v24, s52 :: v_dual_mov_b32 v25, s53
	s_wait_loadcnt 0x0
	v_and_b32_e32 v17, s53, v17
	v_and_b32_e32 v16, s52, v16
	s_delay_alu instid0(VALU_DEP_1) | instskip(NEXT) | instid1(VALU_DEP_1)
	v_mul_u64_e32 v[16:17], 24, v[16:17]
	v_add_nc_u64_e32 v[22:23], v[34:35], v[16:17]
	global_store_b64 v[22:23], v[26:27], off
	global_wb scope:SCOPE_SYS
	s_wait_storecnt 0x0
	s_wait_xcnt 0x0
	global_atomic_cmpswap_b64 v[18:19], v1, v[24:27], s[34:35] offset:32 th:TH_ATOMIC_RETURN scope:SCOPE_SYS
	s_wait_loadcnt 0x0
	v_cmpx_ne_u64_e64 v[18:19], v[26:27]
	s_cbranch_execz .LBB5_926
; %bb.924:                              ;   in Loop: Header=BB5_865 Depth=2
	s_mov_b32 s55, 0
.LBB5_925:                              ;   Parent Loop BB5_270 Depth=1
                                        ;     Parent Loop BB5_865 Depth=2
                                        ; =>    This Inner Loop Header: Depth=3
	v_dual_mov_b32 v16, s52 :: v_dual_mov_b32 v17, s53
	s_sleep 1
	global_store_b64 v[22:23], v[18:19], off
	global_wb scope:SCOPE_SYS
	s_wait_storecnt 0x0
	s_wait_xcnt 0x0
	global_atomic_cmpswap_b64 v[16:17], v1, v[16:19], s[34:35] offset:32 th:TH_ATOMIC_RETURN scope:SCOPE_SYS
	s_wait_loadcnt 0x0
	v_cmp_eq_u64_e32 vcc_lo, v[16:17], v[18:19]
	v_mov_b64_e32 v[18:19], v[16:17]
	s_or_b32 s55, vcc_lo, s55
	s_delay_alu instid0(SALU_CYCLE_1)
	s_and_not1_b32 exec_lo, exec_lo, s55
	s_cbranch_execnz .LBB5_925
.LBB5_926:                              ;   in Loop: Header=BB5_865 Depth=2
	s_or_b32 exec_lo, exec_lo, s54
	global_load_b64 v[16:17], v1, s[34:35] offset:16
	s_mov_b32 s55, exec_lo
	s_mov_b32 s54, exec_lo
	v_mbcnt_lo_u32_b32 v0, s55, 0
	s_wait_xcnt 0x0
	s_delay_alu instid0(VALU_DEP_1)
	v_cmpx_eq_u32_e32 0, v0
	s_cbranch_execz .LBB5_928
; %bb.927:                              ;   in Loop: Header=BB5_865 Depth=2
	s_bcnt1_i32_b32 s55, s55
	s_delay_alu instid0(SALU_CYCLE_1)
	v_mov_b32_e32 v0, s55
	global_wb scope:SCOPE_SYS
	s_wait_loadcnt 0x0
	s_wait_storecnt 0x0
	global_atomic_add_u64 v[16:17], v[0:1], off offset:8 scope:SCOPE_SYS
.LBB5_928:                              ;   in Loop: Header=BB5_865 Depth=2
	s_wait_xcnt 0x0
	s_or_b32 exec_lo, exec_lo, s54
	s_wait_loadcnt 0x0
	global_load_b64 v[18:19], v[16:17], off offset:16
	s_wait_loadcnt 0x0
	v_cmp_eq_u64_e32 vcc_lo, 0, v[18:19]
	s_cbranch_vccnz .LBB5_930
; %bb.929:                              ;   in Loop: Header=BB5_865 Depth=2
	global_load_b32 v0, v[16:17], off offset:24
	s_wait_loadcnt 0x0
	v_readfirstlane_b32 s54, v0
	global_wb scope:SCOPE_SYS
	s_wait_storecnt 0x0
	s_wait_xcnt 0x0
	global_store_b64 v[18:19], v[0:1], off scope:SCOPE_SYS
	s_and_b32 m0, s54, 0xffffff
	s_sendmsg sendmsg(MSG_INTERRUPT)
.LBB5_930:                              ;   in Loop: Header=BB5_865 Depth=2
	s_wait_xcnt 0x0
	s_or_b32 exec_lo, exec_lo, s3
	v_mov_b32_e32 v43, v1
	s_delay_alu instid0(VALU_DEP_1)
	v_add_nc_u64_e32 v[16:17], v[36:37], v[42:43]
	s_branch .LBB5_934
.LBB5_931:                              ;   in Loop: Header=BB5_934 Depth=3
	s_wait_xcnt 0x0
	s_or_b32 exec_lo, exec_lo, s3
	s_delay_alu instid0(VALU_DEP_1)
	v_readfirstlane_b32 s3, v0
	s_cmp_eq_u32 s3, 0
	s_cbranch_scc1 .LBB5_933
; %bb.932:                              ;   in Loop: Header=BB5_934 Depth=3
	s_sleep 1
	s_cbranch_execnz .LBB5_934
	s_branch .LBB5_936
.LBB5_933:                              ;   in Loop: Header=BB5_865 Depth=2
	s_branch .LBB5_936
.LBB5_934:                              ;   Parent Loop BB5_270 Depth=1
                                        ;     Parent Loop BB5_865 Depth=2
                                        ; =>    This Inner Loop Header: Depth=3
	v_mov_b32_e32 v0, 1
	s_and_saveexec_b32 s3, s2
	s_cbranch_execz .LBB5_931
; %bb.935:                              ;   in Loop: Header=BB5_934 Depth=3
	global_load_b32 v0, v[38:39], off offset:20 scope:SCOPE_SYS
	s_wait_loadcnt 0x0
	global_inv scope:SCOPE_SYS
	v_and_b32_e32 v0, 1, v0
	s_branch .LBB5_931
.LBB5_936:                              ;   in Loop: Header=BB5_865 Depth=2
	global_load_b64 v[16:17], v[16:17], off
	s_wait_xcnt 0x0
	s_and_saveexec_b32 s54, s2
	s_cbranch_execz .LBB5_864
; %bb.937:                              ;   in Loop: Header=BB5_865 Depth=2
	s_clause 0x2
	global_load_b64 v[18:19], v1, s[34:35] offset:40
	global_load_b64 v[26:27], v1, s[34:35] offset:24 scope:SCOPE_SYS
	global_load_b64 v[22:23], v1, s[34:35]
	s_wait_loadcnt 0x2
	v_readfirstlane_b32 s62, v18
	v_readfirstlane_b32 s63, v19
	s_add_nc_u64 s[2:3], s[62:63], 1
	s_delay_alu instid0(SALU_CYCLE_1) | instskip(NEXT) | instid1(SALU_CYCLE_1)
	s_add_nc_u64 s[52:53], s[2:3], s[52:53]
	s_cmp_eq_u64 s[52:53], 0
	s_cselect_b32 s3, s3, s53
	s_cselect_b32 s2, s2, s52
	s_delay_alu instid0(SALU_CYCLE_1) | instskip(SKIP_1) | instid1(SALU_CYCLE_1)
	v_dual_mov_b32 v25, s3 :: v_dual_mov_b32 v24, s2
	s_and_b64 s[52:53], s[2:3], s[62:63]
	s_mul_u64 s[52:53], s[52:53], 24
	s_wait_loadcnt 0x0
	v_add_nc_u64_e32 v[18:19], s[52:53], v[22:23]
	global_store_b64 v[18:19], v[26:27], off
	global_wb scope:SCOPE_SYS
	s_wait_storecnt 0x0
	s_wait_xcnt 0x0
	global_atomic_cmpswap_b64 v[24:25], v1, v[24:27], s[34:35] offset:24 th:TH_ATOMIC_RETURN scope:SCOPE_SYS
	s_wait_loadcnt 0x0
	v_cmp_ne_u64_e32 vcc_lo, v[24:25], v[26:27]
	s_and_b32 exec_lo, exec_lo, vcc_lo
	s_cbranch_execz .LBB5_864
; %bb.938:                              ;   in Loop: Header=BB5_865 Depth=2
	s_mov_b32 s52, 0
.LBB5_939:                              ;   Parent Loop BB5_270 Depth=1
                                        ;     Parent Loop BB5_865 Depth=2
                                        ; =>    This Inner Loop Header: Depth=3
	v_dual_mov_b32 v22, s2 :: v_dual_mov_b32 v23, s3
	s_sleep 1
	global_store_b64 v[18:19], v[24:25], off
	global_wb scope:SCOPE_SYS
	s_wait_storecnt 0x0
	s_wait_xcnt 0x0
	global_atomic_cmpswap_b64 v[22:23], v1, v[22:25], s[34:35] offset:24 th:TH_ATOMIC_RETURN scope:SCOPE_SYS
	s_wait_loadcnt 0x0
	v_cmp_eq_u64_e32 vcc_lo, v[22:23], v[24:25]
	v_mov_b64_e32 v[24:25], v[22:23]
	s_or_b32 s52, vcc_lo, s52
	s_delay_alu instid0(SALU_CYCLE_1)
	s_and_not1_b32 exec_lo, exec_lo, s52
	s_cbranch_execnz .LBB5_939
	s_branch .LBB5_864
.LBB5_940:                              ;   in Loop: Header=BB5_270 Depth=1
	s_branch .LBB5_970
.LBB5_941:                              ;   in Loop: Header=BB5_270 Depth=1
	s_wait_xcnt 0x0
	s_cbranch_execnz .LBB5_1108
	s_branch .LBB5_1241
.LBB5_942:                              ;   in Loop: Header=BB5_270 Depth=1
                                        ; implicit-def: $vgpr16_vgpr17
	s_cbranch_execz .LBB5_970
; %bb.943:                              ;   in Loop: Header=BB5_270 Depth=1
	v_readfirstlane_b32 s2, v56
	v_mov_b64_e32 v[6:7], 0
	s_delay_alu instid0(VALU_DEP_2)
	v_cmp_eq_u32_e64 s2, s2, v56
	s_and_saveexec_b32 s3, s2
	s_cbranch_execz .LBB5_949
; %bb.944:                              ;   in Loop: Header=BB5_270 Depth=1
	global_load_b64 v[18:19], v1, s[34:35] offset:24 scope:SCOPE_SYS
	s_wait_loadcnt 0x0
	global_inv scope:SCOPE_SYS
	s_clause 0x1
	global_load_b64 v[6:7], v1, s[34:35] offset:40
	global_load_b64 v[16:17], v1, s[34:35]
	s_mov_b32 s46, exec_lo
	s_wait_loadcnt 0x1
	v_and_b32_e32 v6, v6, v18
	v_and_b32_e32 v7, v7, v19
	s_delay_alu instid0(VALU_DEP_1) | instskip(SKIP_1) | instid1(VALU_DEP_1)
	v_mul_u64_e32 v[6:7], 24, v[6:7]
	s_wait_loadcnt 0x0
	v_add_nc_u64_e32 v[6:7], v[16:17], v[6:7]
	global_load_b64 v[16:17], v[6:7], off scope:SCOPE_SYS
	s_wait_xcnt 0x0
	s_wait_loadcnt 0x0
	global_atomic_cmpswap_b64 v[6:7], v1, v[16:19], s[34:35] offset:24 th:TH_ATOMIC_RETURN scope:SCOPE_SYS
	s_wait_loadcnt 0x0
	global_inv scope:SCOPE_SYS
	s_wait_xcnt 0x0
	v_cmpx_ne_u64_e64 v[6:7], v[18:19]
	s_cbranch_execz .LBB5_948
; %bb.945:                              ;   in Loop: Header=BB5_270 Depth=1
	s_mov_b32 s47, 0
.LBB5_946:                              ;   Parent Loop BB5_270 Depth=1
                                        ; =>  This Inner Loop Header: Depth=2
	s_sleep 1
	s_clause 0x1
	global_load_b64 v[16:17], v1, s[34:35] offset:40
	global_load_b64 v[22:23], v1, s[34:35]
	v_mov_b64_e32 v[18:19], v[6:7]
	s_wait_loadcnt 0x1
	s_delay_alu instid0(VALU_DEP_1) | instskip(SKIP_1) | instid1(VALU_DEP_1)
	v_and_b32_e32 v0, v16, v18
	s_wait_loadcnt 0x0
	v_mad_nc_u64_u32 v[6:7], v0, 24, v[22:23]
	s_delay_alu instid0(VALU_DEP_3) | instskip(NEXT) | instid1(VALU_DEP_1)
	v_and_b32_e32 v0, v17, v19
	v_mad_u32 v7, v0, 24, v7
	global_load_b64 v[16:17], v[6:7], off scope:SCOPE_SYS
	s_wait_xcnt 0x0
	s_wait_loadcnt 0x0
	global_atomic_cmpswap_b64 v[6:7], v1, v[16:19], s[34:35] offset:24 th:TH_ATOMIC_RETURN scope:SCOPE_SYS
	s_wait_loadcnt 0x0
	global_inv scope:SCOPE_SYS
	v_cmp_eq_u64_e32 vcc_lo, v[6:7], v[18:19]
	s_or_b32 s47, vcc_lo, s47
	s_wait_xcnt 0x0
	s_and_not1_b32 exec_lo, exec_lo, s47
	s_cbranch_execnz .LBB5_946
; %bb.947:                              ;   in Loop: Header=BB5_270 Depth=1
	s_or_b32 exec_lo, exec_lo, s47
.LBB5_948:                              ;   in Loop: Header=BB5_270 Depth=1
	s_delay_alu instid0(SALU_CYCLE_1)
	s_or_b32 exec_lo, exec_lo, s46
.LBB5_949:                              ;   in Loop: Header=BB5_270 Depth=1
	s_delay_alu instid0(SALU_CYCLE_1)
	s_or_b32 exec_lo, exec_lo, s3
	global_load_b64 v[22:23], v1, s[34:35] offset:40
	s_wait_loadcnt 0x1
	global_load_b128 v[16:19], v1, s[34:35]
	v_readfirstlane_b32 s46, v6
	v_readfirstlane_b32 s47, v7
	s_mov_b32 s3, exec_lo
	s_wait_loadcnt 0x1
	v_and_b32_e32 v22, s46, v22
	v_and_b32_e32 v23, s47, v23
	s_delay_alu instid0(VALU_DEP_1) | instskip(SKIP_1) | instid1(VALU_DEP_1)
	v_mul_u64_e32 v[6:7], 24, v[22:23]
	s_wait_loadcnt 0x0
	v_add_nc_u64_e32 v[6:7], v[16:17], v[6:7]
	s_wait_xcnt 0x0
	s_and_saveexec_b32 s48, s2
	s_cbranch_execz .LBB5_951
; %bb.950:                              ;   in Loop: Header=BB5_270 Depth=1
	v_mov_b32_e32 v0, s3
	global_store_b128 v[6:7], v[0:3], off offset:8
.LBB5_951:                              ;   in Loop: Header=BB5_270 Depth=1
	s_wait_xcnt 0x0
	s_or_b32 exec_lo, exec_lo, s48
	v_lshlrev_b64_e32 v[22:23], 12, v[22:23]
	v_mov_b64_e32 v[28:29], s[6:7]
	v_mov_b64_e32 v[26:27], s[4:5]
	v_and_or_b32 v20, 0xffffff1f, v20, 32
	s_delay_alu instid0(VALU_DEP_4) | instskip(SKIP_1) | instid1(VALU_DEP_2)
	v_add_nc_u64_e32 v[24:25], v[18:19], v[22:23]
	v_dual_mov_b32 v22, v1 :: v_dual_mov_b32 v23, v1
	v_readfirstlane_b32 s48, v24
	s_delay_alu instid0(VALU_DEP_3)
	v_readfirstlane_b32 s49, v25
	s_clause 0x3
	global_store_b128 v42, v[20:23], s[48:49]
	global_store_b128 v42, v[26:29], s[48:49] offset:16
	global_store_b128 v42, v[26:29], s[48:49] offset:32
	;; [unrolled: 1-line block ×3, first 2 shown]
	s_wait_xcnt 0x0
	s_and_saveexec_b32 s3, s2
	s_cbranch_execz .LBB5_959
; %bb.952:                              ;   in Loop: Header=BB5_270 Depth=1
	s_clause 0x1
	global_load_b64 v[28:29], v1, s[34:35] offset:32 scope:SCOPE_SYS
	global_load_b64 v[18:19], v1, s[34:35] offset:40
	s_mov_b32 s48, exec_lo
	v_dual_mov_b32 v26, s46 :: v_dual_mov_b32 v27, s47
	s_wait_loadcnt 0x0
	v_and_b32_e32 v19, s47, v19
	v_and_b32_e32 v18, s46, v18
	s_delay_alu instid0(VALU_DEP_1) | instskip(NEXT) | instid1(VALU_DEP_1)
	v_mul_u64_e32 v[18:19], 24, v[18:19]
	v_add_nc_u64_e32 v[20:21], v[16:17], v[18:19]
	global_store_b64 v[20:21], v[28:29], off
	global_wb scope:SCOPE_SYS
	s_wait_storecnt 0x0
	s_wait_xcnt 0x0
	global_atomic_cmpswap_b64 v[18:19], v1, v[26:29], s[34:35] offset:32 th:TH_ATOMIC_RETURN scope:SCOPE_SYS
	s_wait_loadcnt 0x0
	v_cmpx_ne_u64_e64 v[18:19], v[28:29]
	s_cbranch_execz .LBB5_955
; %bb.953:                              ;   in Loop: Header=BB5_270 Depth=1
	s_mov_b32 s49, 0
.LBB5_954:                              ;   Parent Loop BB5_270 Depth=1
                                        ; =>  This Inner Loop Header: Depth=2
	v_dual_mov_b32 v16, s46 :: v_dual_mov_b32 v17, s47
	s_sleep 1
	global_store_b64 v[20:21], v[18:19], off
	global_wb scope:SCOPE_SYS
	s_wait_storecnt 0x0
	s_wait_xcnt 0x0
	global_atomic_cmpswap_b64 v[16:17], v1, v[16:19], s[34:35] offset:32 th:TH_ATOMIC_RETURN scope:SCOPE_SYS
	s_wait_loadcnt 0x0
	v_cmp_eq_u64_e32 vcc_lo, v[16:17], v[18:19]
	v_mov_b64_e32 v[18:19], v[16:17]
	s_or_b32 s49, vcc_lo, s49
	s_delay_alu instid0(SALU_CYCLE_1)
	s_and_not1_b32 exec_lo, exec_lo, s49
	s_cbranch_execnz .LBB5_954
.LBB5_955:                              ;   in Loop: Header=BB5_270 Depth=1
	s_or_b32 exec_lo, exec_lo, s48
	global_load_b64 v[16:17], v1, s[34:35] offset:16
	s_mov_b32 s49, exec_lo
	s_mov_b32 s48, exec_lo
	v_mbcnt_lo_u32_b32 v0, s49, 0
	s_wait_xcnt 0x0
	s_delay_alu instid0(VALU_DEP_1)
	v_cmpx_eq_u32_e32 0, v0
	s_cbranch_execz .LBB5_957
; %bb.956:                              ;   in Loop: Header=BB5_270 Depth=1
	s_bcnt1_i32_b32 s49, s49
	s_delay_alu instid0(SALU_CYCLE_1)
	v_mov_b32_e32 v0, s49
	global_wb scope:SCOPE_SYS
	s_wait_loadcnt 0x0
	s_wait_storecnt 0x0
	global_atomic_add_u64 v[16:17], v[0:1], off offset:8 scope:SCOPE_SYS
.LBB5_957:                              ;   in Loop: Header=BB5_270 Depth=1
	s_wait_xcnt 0x0
	s_or_b32 exec_lo, exec_lo, s48
	s_wait_loadcnt 0x0
	global_load_b64 v[18:19], v[16:17], off offset:16
	s_wait_loadcnt 0x0
	v_cmp_eq_u64_e32 vcc_lo, 0, v[18:19]
	s_cbranch_vccnz .LBB5_959
; %bb.958:                              ;   in Loop: Header=BB5_270 Depth=1
	global_load_b32 v0, v[16:17], off offset:24
	s_wait_loadcnt 0x0
	v_readfirstlane_b32 s48, v0
	global_wb scope:SCOPE_SYS
	s_wait_storecnt 0x0
	s_wait_xcnt 0x0
	global_store_b64 v[18:19], v[0:1], off scope:SCOPE_SYS
	s_and_b32 m0, s48, 0xffffff
	s_sendmsg sendmsg(MSG_INTERRUPT)
.LBB5_959:                              ;   in Loop: Header=BB5_270 Depth=1
	s_wait_xcnt 0x0
	s_or_b32 exec_lo, exec_lo, s3
	v_mov_b32_e32 v43, v1
	s_delay_alu instid0(VALU_DEP_1)
	v_add_nc_u64_e32 v[16:17], v[24:25], v[42:43]
	s_branch .LBB5_963
.LBB5_960:                              ;   in Loop: Header=BB5_963 Depth=2
	s_wait_xcnt 0x0
	s_or_b32 exec_lo, exec_lo, s3
	s_delay_alu instid0(VALU_DEP_1)
	v_readfirstlane_b32 s3, v0
	s_cmp_eq_u32 s3, 0
	s_cbranch_scc1 .LBB5_962
; %bb.961:                              ;   in Loop: Header=BB5_963 Depth=2
	s_sleep 1
	s_cbranch_execnz .LBB5_963
	s_branch .LBB5_965
.LBB5_962:                              ;   in Loop: Header=BB5_270 Depth=1
	s_branch .LBB5_965
.LBB5_963:                              ;   Parent Loop BB5_270 Depth=1
                                        ; =>  This Inner Loop Header: Depth=2
	v_mov_b32_e32 v0, 1
	s_and_saveexec_b32 s3, s2
	s_cbranch_execz .LBB5_960
; %bb.964:                              ;   in Loop: Header=BB5_963 Depth=2
	global_load_b32 v0, v[6:7], off offset:20 scope:SCOPE_SYS
	s_wait_loadcnt 0x0
	global_inv scope:SCOPE_SYS
	v_and_b32_e32 v0, 1, v0
	s_branch .LBB5_960
.LBB5_965:                              ;   in Loop: Header=BB5_270 Depth=1
	global_load_b64 v[16:17], v[16:17], off
	s_wait_xcnt 0x0
	s_and_saveexec_b32 s48, s2
	s_cbranch_execz .LBB5_969
; %bb.966:                              ;   in Loop: Header=BB5_270 Depth=1
	s_clause 0x2
	global_load_b64 v[6:7], v1, s[34:35] offset:40
	global_load_b64 v[22:23], v1, s[34:35] offset:24 scope:SCOPE_SYS
	global_load_b64 v[18:19], v1, s[34:35]
	s_wait_loadcnt 0x2
	v_readfirstlane_b32 s50, v6
	v_readfirstlane_b32 s51, v7
	s_add_nc_u64 s[2:3], s[50:51], 1
	s_delay_alu instid0(SALU_CYCLE_1) | instskip(NEXT) | instid1(SALU_CYCLE_1)
	s_add_nc_u64 s[46:47], s[2:3], s[46:47]
	s_cmp_eq_u64 s[46:47], 0
	s_cselect_b32 s3, s3, s47
	s_cselect_b32 s2, s2, s46
	s_delay_alu instid0(SALU_CYCLE_1) | instskip(SKIP_1) | instid1(SALU_CYCLE_1)
	v_dual_mov_b32 v21, s3 :: v_dual_mov_b32 v20, s2
	s_and_b64 s[46:47], s[2:3], s[50:51]
	s_mul_u64 s[46:47], s[46:47], 24
	s_wait_loadcnt 0x0
	v_add_nc_u64_e32 v[6:7], s[46:47], v[18:19]
	global_store_b64 v[6:7], v[22:23], off
	global_wb scope:SCOPE_SYS
	s_wait_storecnt 0x0
	s_wait_xcnt 0x0
	global_atomic_cmpswap_b64 v[20:21], v1, v[20:23], s[34:35] offset:24 th:TH_ATOMIC_RETURN scope:SCOPE_SYS
	s_wait_loadcnt 0x0
	v_cmp_ne_u64_e32 vcc_lo, v[20:21], v[22:23]
	s_and_b32 exec_lo, exec_lo, vcc_lo
	s_cbranch_execz .LBB5_969
; %bb.967:                              ;   in Loop: Header=BB5_270 Depth=1
	s_mov_b32 s46, 0
.LBB5_968:                              ;   Parent Loop BB5_270 Depth=1
                                        ; =>  This Inner Loop Header: Depth=2
	v_dual_mov_b32 v18, s2 :: v_dual_mov_b32 v19, s3
	s_sleep 1
	global_store_b64 v[6:7], v[20:21], off
	global_wb scope:SCOPE_SYS
	s_wait_storecnt 0x0
	s_wait_xcnt 0x0
	global_atomic_cmpswap_b64 v[18:19], v1, v[18:21], s[34:35] offset:24 th:TH_ATOMIC_RETURN scope:SCOPE_SYS
	s_wait_loadcnt 0x0
	v_cmp_eq_u64_e32 vcc_lo, v[18:19], v[20:21]
	v_mov_b64_e32 v[20:21], v[18:19]
	s_or_b32 s46, vcc_lo, s46
	s_delay_alu instid0(SALU_CYCLE_1)
	s_and_not1_b32 exec_lo, exec_lo, s46
	s_cbranch_execnz .LBB5_968
.LBB5_969:                              ;   in Loop: Header=BB5_270 Depth=1
	s_or_b32 exec_lo, exec_lo, s48
.LBB5_970:                              ;   in Loop: Header=BB5_270 Depth=1
	s_bitcmp0_b32 s60, 0
	s_mov_b64 s[48:49], 0
	s_cselect_b32 s47, s41, s39
	s_cselect_b32 s46, s40, s38
	s_delay_alu instid0(SALU_CYCLE_1)
	s_cmp_lg_u64 s[46:47], 0
	s_cselect_b32 s50, -1, 0
	s_cmp_eq_u64 s[46:47], 0
	s_cbranch_scc1 .LBB5_974
; %bb.971:                              ;   in Loop: Header=BB5_270 Depth=1
	s_add_nc_u64 s[2:3], s[46:47], -1
.LBB5_972:                              ;   Parent Loop BB5_270 Depth=1
                                        ; =>  This Inner Loop Header: Depth=2
	s_load_u8 s48, s[2:3], 0x1
	s_wait_xcnt 0x0
	s_add_nc_u64 s[2:3], s[2:3], 1
	s_wait_kmcnt 0x0
	s_cmp_lg_u32 s48, 0
	s_cbranch_scc1 .LBB5_972
; %bb.973:                              ;   in Loop: Header=BB5_270 Depth=1
	s_sub_nc_u64 s[2:3], s[2:3], s[46:47]
	s_delay_alu instid0(SALU_CYCLE_1)
	s_add_nc_u64 s[48:49], s[2:3], 1
.LBB5_974:                              ;   in Loop: Header=BB5_270 Depth=1
	s_and_b32 vcc_lo, exec_lo, s50
	s_cbranch_vccz .LBB5_1053
; %bb.975:                              ;   in Loop: Header=BB5_270 Depth=1
	s_wait_loadcnt 0x0
	v_dual_mov_b32 v19, v17 :: v_dual_bitop2_b32 v6, 2, v16 bitop3:0x40
	v_and_b32_e32 v18, -3, v16
	s_branch .LBB5_977
.LBB5_976:                              ;   in Loop: Header=BB5_977 Depth=2
	s_or_b32 exec_lo, exec_lo, s54
	s_sub_nc_u64 s[48:49], s[48:49], s[50:51]
	s_add_nc_u64 s[46:47], s[46:47], s[50:51]
	s_cmp_lg_u64 s[48:49], 0
	s_cbranch_scc0 .LBB5_1052
.LBB5_977:                              ;   Parent Loop BB5_270 Depth=1
                                        ; =>  This Loop Header: Depth=2
                                        ;       Child Loop BB5_980 Depth 3
                                        ;       Child Loop BB5_987 Depth 3
	;; [unrolled: 1-line block ×11, first 2 shown]
	v_min_u64 v[20:21], s[48:49], 56
	v_cmp_gt_u64_e64 s2, s[48:49], 7
	s_and_b32 vcc_lo, exec_lo, s2
	v_readfirstlane_b32 s50, v20
	v_readfirstlane_b32 s51, v21
	s_cbranch_vccnz .LBB5_982
; %bb.978:                              ;   in Loop: Header=BB5_977 Depth=2
	v_mov_b64_e32 v[20:21], 0
	s_cmp_eq_u64 s[48:49], 0
	s_cbranch_scc1 .LBB5_981
; %bb.979:                              ;   in Loop: Header=BB5_977 Depth=2
	s_mov_b64 s[2:3], 0
	s_mov_b64 s[52:53], 0
.LBB5_980:                              ;   Parent Loop BB5_270 Depth=1
                                        ;     Parent Loop BB5_977 Depth=2
                                        ; =>    This Inner Loop Header: Depth=3
	s_wait_xcnt 0x0
	s_add_nc_u64 s[54:55], s[46:47], s[52:53]
	s_add_nc_u64 s[52:53], s[52:53], 1
	global_load_u8 v0, v1, s[54:55]
	s_cmp_lg_u32 s50, s52
	s_wait_loadcnt 0x0
	v_and_b32_e32 v0, 0xffff, v0
	s_delay_alu instid0(VALU_DEP_1) | instskip(SKIP_1) | instid1(VALU_DEP_1)
	v_lshlrev_b64_e32 v[22:23], s2, v[0:1]
	s_add_nc_u64 s[2:3], s[2:3], 8
	v_or_b32_e32 v20, v22, v20
	s_delay_alu instid0(VALU_DEP_2)
	v_or_b32_e32 v21, v23, v21
	s_cbranch_scc1 .LBB5_980
.LBB5_981:                              ;   in Loop: Header=BB5_977 Depth=2
	s_mov_b64 s[2:3], s[46:47]
	s_mov_b32 s61, 0
	s_cbranch_execz .LBB5_983
	s_branch .LBB5_984
.LBB5_982:                              ;   in Loop: Header=BB5_977 Depth=2
	s_add_nc_u64 s[2:3], s[46:47], 8
	s_mov_b32 s61, 0
.LBB5_983:                              ;   in Loop: Header=BB5_977 Depth=2
	global_load_b64 v[20:21], v1, s[46:47]
	s_add_co_i32 s61, s50, -8
.LBB5_984:                              ;   in Loop: Header=BB5_977 Depth=2
	s_delay_alu instid0(SALU_CYCLE_1)
	s_cmp_gt_u32 s61, 7
	s_cbranch_scc1 .LBB5_989
; %bb.985:                              ;   in Loop: Header=BB5_977 Depth=2
	v_mov_b64_e32 v[22:23], 0
	s_cmp_eq_u32 s61, 0
	s_cbranch_scc1 .LBB5_988
; %bb.986:                              ;   in Loop: Header=BB5_977 Depth=2
	s_mov_b64 s[52:53], 0
	s_wait_xcnt 0x0
	s_mov_b64 s[54:55], 0
.LBB5_987:                              ;   Parent Loop BB5_270 Depth=1
                                        ;     Parent Loop BB5_977 Depth=2
                                        ; =>    This Inner Loop Header: Depth=3
	s_wait_xcnt 0x0
	s_add_nc_u64 s[62:63], s[2:3], s[54:55]
	s_add_nc_u64 s[54:55], s[54:55], 1
	global_load_u8 v0, v1, s[62:63]
	s_cmp_lg_u32 s61, s54
	s_wait_loadcnt 0x0
	v_and_b32_e32 v0, 0xffff, v0
	s_delay_alu instid0(VALU_DEP_1) | instskip(SKIP_1) | instid1(VALU_DEP_1)
	v_lshlrev_b64_e32 v[24:25], s52, v[0:1]
	s_add_nc_u64 s[52:53], s[52:53], 8
	v_or_b32_e32 v22, v24, v22
	s_delay_alu instid0(VALU_DEP_2)
	v_or_b32_e32 v23, v25, v23
	s_cbranch_scc1 .LBB5_987
.LBB5_988:                              ;   in Loop: Header=BB5_977 Depth=2
	s_wait_xcnt 0x0
	s_mov_b64 s[52:53], s[2:3]
	s_mov_b32 s62, 0
	s_cbranch_execz .LBB5_990
	s_branch .LBB5_991
.LBB5_989:                              ;   in Loop: Header=BB5_977 Depth=2
	s_add_nc_u64 s[52:53], s[2:3], 8
	s_wait_xcnt 0x0
                                        ; implicit-def: $vgpr22_vgpr23
	s_mov_b32 s62, 0
.LBB5_990:                              ;   in Loop: Header=BB5_977 Depth=2
	global_load_b64 v[22:23], v1, s[2:3]
	s_add_co_i32 s62, s61, -8
.LBB5_991:                              ;   in Loop: Header=BB5_977 Depth=2
	s_delay_alu instid0(SALU_CYCLE_1)
	s_cmp_gt_u32 s62, 7
	s_cbranch_scc1 .LBB5_996
; %bb.992:                              ;   in Loop: Header=BB5_977 Depth=2
	v_mov_b64_e32 v[24:25], 0
	s_cmp_eq_u32 s62, 0
	s_cbranch_scc1 .LBB5_995
; %bb.993:                              ;   in Loop: Header=BB5_977 Depth=2
	s_wait_xcnt 0x0
	s_mov_b64 s[2:3], 0
	s_mov_b64 s[54:55], 0
.LBB5_994:                              ;   Parent Loop BB5_270 Depth=1
                                        ;     Parent Loop BB5_977 Depth=2
                                        ; =>    This Inner Loop Header: Depth=3
	s_wait_xcnt 0x0
	s_add_nc_u64 s[64:65], s[52:53], s[54:55]
	s_add_nc_u64 s[54:55], s[54:55], 1
	global_load_u8 v0, v1, s[64:65]
	s_cmp_lg_u32 s62, s54
	s_wait_loadcnt 0x0
	v_and_b32_e32 v0, 0xffff, v0
	s_delay_alu instid0(VALU_DEP_1) | instskip(SKIP_1) | instid1(VALU_DEP_1)
	v_lshlrev_b64_e32 v[26:27], s2, v[0:1]
	s_add_nc_u64 s[2:3], s[2:3], 8
	v_or_b32_e32 v24, v26, v24
	s_delay_alu instid0(VALU_DEP_2)
	v_or_b32_e32 v25, v27, v25
	s_cbranch_scc1 .LBB5_994
.LBB5_995:                              ;   in Loop: Header=BB5_977 Depth=2
	s_wait_xcnt 0x0
	s_mov_b64 s[2:3], s[52:53]
	s_mov_b32 s61, 0
	s_cbranch_execz .LBB5_997
	s_branch .LBB5_998
.LBB5_996:                              ;   in Loop: Header=BB5_977 Depth=2
	s_wait_xcnt 0x0
	s_add_nc_u64 s[2:3], s[52:53], 8
	s_mov_b32 s61, 0
.LBB5_997:                              ;   in Loop: Header=BB5_977 Depth=2
	global_load_b64 v[24:25], v1, s[52:53]
	s_add_co_i32 s61, s62, -8
.LBB5_998:                              ;   in Loop: Header=BB5_977 Depth=2
	s_delay_alu instid0(SALU_CYCLE_1)
	s_cmp_gt_u32 s61, 7
	s_cbranch_scc1 .LBB5_1003
; %bb.999:                              ;   in Loop: Header=BB5_977 Depth=2
	v_mov_b64_e32 v[26:27], 0
	s_cmp_eq_u32 s61, 0
	s_cbranch_scc1 .LBB5_1002
; %bb.1000:                             ;   in Loop: Header=BB5_977 Depth=2
	s_wait_xcnt 0x0
	s_mov_b64 s[52:53], 0
	s_mov_b64 s[54:55], 0
.LBB5_1001:                             ;   Parent Loop BB5_270 Depth=1
                                        ;     Parent Loop BB5_977 Depth=2
                                        ; =>    This Inner Loop Header: Depth=3
	s_wait_xcnt 0x0
	s_add_nc_u64 s[62:63], s[2:3], s[54:55]
	s_add_nc_u64 s[54:55], s[54:55], 1
	global_load_u8 v0, v1, s[62:63]
	s_cmp_lg_u32 s61, s54
	s_wait_loadcnt 0x0
	v_and_b32_e32 v0, 0xffff, v0
	s_delay_alu instid0(VALU_DEP_1) | instskip(SKIP_1) | instid1(VALU_DEP_1)
	v_lshlrev_b64_e32 v[28:29], s52, v[0:1]
	s_add_nc_u64 s[52:53], s[52:53], 8
	v_or_b32_e32 v26, v28, v26
	s_delay_alu instid0(VALU_DEP_2)
	v_or_b32_e32 v27, v29, v27
	s_cbranch_scc1 .LBB5_1001
.LBB5_1002:                             ;   in Loop: Header=BB5_977 Depth=2
	s_wait_xcnt 0x0
	s_mov_b64 s[52:53], s[2:3]
	s_mov_b32 s62, 0
	s_cbranch_execz .LBB5_1004
	s_branch .LBB5_1005
.LBB5_1003:                             ;   in Loop: Header=BB5_977 Depth=2
	s_wait_xcnt 0x0
	s_add_nc_u64 s[52:53], s[2:3], 8
                                        ; implicit-def: $vgpr26_vgpr27
	s_mov_b32 s62, 0
.LBB5_1004:                             ;   in Loop: Header=BB5_977 Depth=2
	global_load_b64 v[26:27], v1, s[2:3]
	s_add_co_i32 s62, s61, -8
.LBB5_1005:                             ;   in Loop: Header=BB5_977 Depth=2
	s_delay_alu instid0(SALU_CYCLE_1)
	s_cmp_gt_u32 s62, 7
	s_cbranch_scc1 .LBB5_1010
; %bb.1006:                             ;   in Loop: Header=BB5_977 Depth=2
	v_mov_b64_e32 v[28:29], 0
	s_cmp_eq_u32 s62, 0
	s_cbranch_scc1 .LBB5_1009
; %bb.1007:                             ;   in Loop: Header=BB5_977 Depth=2
	s_wait_xcnt 0x0
	s_mov_b64 s[2:3], 0
	s_mov_b64 s[54:55], 0
.LBB5_1008:                             ;   Parent Loop BB5_270 Depth=1
                                        ;     Parent Loop BB5_977 Depth=2
                                        ; =>    This Inner Loop Header: Depth=3
	s_wait_xcnt 0x0
	s_add_nc_u64 s[64:65], s[52:53], s[54:55]
	s_add_nc_u64 s[54:55], s[54:55], 1
	global_load_u8 v0, v1, s[64:65]
	s_cmp_lg_u32 s62, s54
	s_wait_loadcnt 0x0
	v_and_b32_e32 v0, 0xffff, v0
	s_delay_alu instid0(VALU_DEP_1) | instskip(SKIP_1) | instid1(VALU_DEP_1)
	v_lshlrev_b64_e32 v[30:31], s2, v[0:1]
	s_add_nc_u64 s[2:3], s[2:3], 8
	v_or_b32_e32 v28, v30, v28
	s_delay_alu instid0(VALU_DEP_2)
	v_or_b32_e32 v29, v31, v29
	s_cbranch_scc1 .LBB5_1008
.LBB5_1009:                             ;   in Loop: Header=BB5_977 Depth=2
	s_wait_xcnt 0x0
	s_mov_b64 s[2:3], s[52:53]
	s_mov_b32 s61, 0
	s_cbranch_execz .LBB5_1011
	s_branch .LBB5_1012
.LBB5_1010:                             ;   in Loop: Header=BB5_977 Depth=2
	s_wait_xcnt 0x0
	s_add_nc_u64 s[2:3], s[52:53], 8
	s_mov_b32 s61, 0
.LBB5_1011:                             ;   in Loop: Header=BB5_977 Depth=2
	global_load_b64 v[28:29], v1, s[52:53]
	s_add_co_i32 s61, s62, -8
.LBB5_1012:                             ;   in Loop: Header=BB5_977 Depth=2
	s_delay_alu instid0(SALU_CYCLE_1)
	s_cmp_gt_u32 s61, 7
	s_cbranch_scc1 .LBB5_1017
; %bb.1013:                             ;   in Loop: Header=BB5_977 Depth=2
	v_mov_b64_e32 v[30:31], 0
	s_cmp_eq_u32 s61, 0
	s_cbranch_scc1 .LBB5_1016
; %bb.1014:                             ;   in Loop: Header=BB5_977 Depth=2
	s_wait_xcnt 0x0
	s_mov_b64 s[52:53], 0
	s_mov_b64 s[54:55], 0
.LBB5_1015:                             ;   Parent Loop BB5_270 Depth=1
                                        ;     Parent Loop BB5_977 Depth=2
                                        ; =>    This Inner Loop Header: Depth=3
	s_wait_xcnt 0x0
	s_add_nc_u64 s[62:63], s[2:3], s[54:55]
	s_add_nc_u64 s[54:55], s[54:55], 1
	global_load_u8 v0, v1, s[62:63]
	s_cmp_lg_u32 s61, s54
	s_wait_loadcnt 0x0
	v_and_b32_e32 v0, 0xffff, v0
	s_delay_alu instid0(VALU_DEP_1) | instskip(SKIP_1) | instid1(VALU_DEP_1)
	v_lshlrev_b64_e32 v[32:33], s52, v[0:1]
	s_add_nc_u64 s[52:53], s[52:53], 8
	v_or_b32_e32 v30, v32, v30
	s_delay_alu instid0(VALU_DEP_2)
	v_or_b32_e32 v31, v33, v31
	s_cbranch_scc1 .LBB5_1015
.LBB5_1016:                             ;   in Loop: Header=BB5_977 Depth=2
	s_wait_xcnt 0x0
	s_mov_b64 s[52:53], s[2:3]
	s_mov_b32 s62, 0
	s_cbranch_execz .LBB5_1018
	s_branch .LBB5_1019
.LBB5_1017:                             ;   in Loop: Header=BB5_977 Depth=2
	s_wait_xcnt 0x0
	s_add_nc_u64 s[52:53], s[2:3], 8
                                        ; implicit-def: $vgpr30_vgpr31
	s_mov_b32 s62, 0
.LBB5_1018:                             ;   in Loop: Header=BB5_977 Depth=2
	global_load_b64 v[30:31], v1, s[2:3]
	s_add_co_i32 s62, s61, -8
.LBB5_1019:                             ;   in Loop: Header=BB5_977 Depth=2
	s_delay_alu instid0(SALU_CYCLE_1)
	s_cmp_gt_u32 s62, 7
	s_cbranch_scc1 .LBB5_1024
; %bb.1020:                             ;   in Loop: Header=BB5_977 Depth=2
	v_mov_b64_e32 v[32:33], 0
	s_cmp_eq_u32 s62, 0
	s_cbranch_scc1 .LBB5_1023
; %bb.1021:                             ;   in Loop: Header=BB5_977 Depth=2
	s_wait_xcnt 0x0
	s_mov_b64 s[2:3], 0
	s_mov_b64 s[54:55], s[52:53]
.LBB5_1022:                             ;   Parent Loop BB5_270 Depth=1
                                        ;     Parent Loop BB5_977 Depth=2
                                        ; =>    This Inner Loop Header: Depth=3
	global_load_u8 v0, v1, s[54:55]
	s_add_co_i32 s62, s62, -1
	s_wait_xcnt 0x0
	s_add_nc_u64 s[54:55], s[54:55], 1
	s_cmp_lg_u32 s62, 0
	s_wait_loadcnt 0x0
	v_and_b32_e32 v0, 0xffff, v0
	s_delay_alu instid0(VALU_DEP_1) | instskip(SKIP_1) | instid1(VALU_DEP_1)
	v_lshlrev_b64_e32 v[34:35], s2, v[0:1]
	s_add_nc_u64 s[2:3], s[2:3], 8
	v_or_b32_e32 v32, v34, v32
	s_delay_alu instid0(VALU_DEP_2)
	v_or_b32_e32 v33, v35, v33
	s_cbranch_scc1 .LBB5_1022
.LBB5_1023:                             ;   in Loop: Header=BB5_977 Depth=2
	s_wait_xcnt 0x0
	s_cbranch_execz .LBB5_1025
	s_branch .LBB5_1026
.LBB5_1024:                             ;   in Loop: Header=BB5_977 Depth=2
	s_wait_xcnt 0x0
.LBB5_1025:                             ;   in Loop: Header=BB5_977 Depth=2
	global_load_b64 v[32:33], v1, s[52:53]
.LBB5_1026:                             ;   in Loop: Header=BB5_977 Depth=2
	v_readfirstlane_b32 s2, v56
	v_mov_b64_e32 v[38:39], 0
	s_delay_alu instid0(VALU_DEP_2)
	v_cmp_eq_u32_e64 s2, s2, v56
	s_wait_xcnt 0x0
	s_and_saveexec_b32 s3, s2
	s_cbranch_execz .LBB5_1032
; %bb.1027:                             ;   in Loop: Header=BB5_977 Depth=2
	global_load_b64 v[36:37], v1, s[34:35] offset:24 scope:SCOPE_SYS
	s_wait_loadcnt 0x0
	global_inv scope:SCOPE_SYS
	s_clause 0x1
	global_load_b64 v[34:35], v1, s[34:35] offset:40
	global_load_b64 v[38:39], v1, s[34:35]
	s_mov_b32 s52, exec_lo
	s_wait_loadcnt 0x1
	v_and_b32_e32 v34, v34, v36
	v_and_b32_e32 v35, v35, v37
	s_delay_alu instid0(VALU_DEP_1) | instskip(SKIP_1) | instid1(VALU_DEP_1)
	v_mul_u64_e32 v[34:35], 24, v[34:35]
	s_wait_loadcnt 0x0
	v_add_nc_u64_e32 v[34:35], v[38:39], v[34:35]
	global_load_b64 v[34:35], v[34:35], off scope:SCOPE_SYS
	s_wait_xcnt 0x0
	s_wait_loadcnt 0x0
	global_atomic_cmpswap_b64 v[38:39], v1, v[34:37], s[34:35] offset:24 th:TH_ATOMIC_RETURN scope:SCOPE_SYS
	s_wait_loadcnt 0x0
	global_inv scope:SCOPE_SYS
	s_wait_xcnt 0x0
	v_cmpx_ne_u64_e64 v[38:39], v[36:37]
	s_cbranch_execz .LBB5_1031
; %bb.1028:                             ;   in Loop: Header=BB5_977 Depth=2
	s_mov_b32 s53, 0
.LBB5_1029:                             ;   Parent Loop BB5_270 Depth=1
                                        ;     Parent Loop BB5_977 Depth=2
                                        ; =>    This Inner Loop Header: Depth=3
	s_sleep 1
	s_clause 0x1
	global_load_b64 v[34:35], v1, s[34:35] offset:40
	global_load_b64 v[44:45], v1, s[34:35]
	v_mov_b64_e32 v[36:37], v[38:39]
	s_wait_loadcnt 0x1
	s_delay_alu instid0(VALU_DEP_1) | instskip(SKIP_1) | instid1(VALU_DEP_1)
	v_and_b32_e32 v0, v34, v36
	s_wait_loadcnt 0x0
	v_mad_nc_u64_u32 v[38:39], v0, 24, v[44:45]
	s_delay_alu instid0(VALU_DEP_3) | instskip(NEXT) | instid1(VALU_DEP_1)
	v_and_b32_e32 v0, v35, v37
	v_mad_u32 v39, v0, 24, v39
	global_load_b64 v[34:35], v[38:39], off scope:SCOPE_SYS
	s_wait_xcnt 0x0
	s_wait_loadcnt 0x0
	global_atomic_cmpswap_b64 v[38:39], v1, v[34:37], s[34:35] offset:24 th:TH_ATOMIC_RETURN scope:SCOPE_SYS
	s_wait_loadcnt 0x0
	global_inv scope:SCOPE_SYS
	v_cmp_eq_u64_e32 vcc_lo, v[38:39], v[36:37]
	s_or_b32 s53, vcc_lo, s53
	s_wait_xcnt 0x0
	s_and_not1_b32 exec_lo, exec_lo, s53
	s_cbranch_execnz .LBB5_1029
; %bb.1030:                             ;   in Loop: Header=BB5_977 Depth=2
	s_or_b32 exec_lo, exec_lo, s53
.LBB5_1031:                             ;   in Loop: Header=BB5_977 Depth=2
	s_delay_alu instid0(SALU_CYCLE_1)
	s_or_b32 exec_lo, exec_lo, s52
.LBB5_1032:                             ;   in Loop: Header=BB5_977 Depth=2
	s_delay_alu instid0(SALU_CYCLE_1)
	s_or_b32 exec_lo, exec_lo, s3
	s_clause 0x1
	global_load_b64 v[44:45], v1, s[34:35] offset:40
	global_load_b128 v[34:37], v1, s[34:35]
	v_readfirstlane_b32 s52, v38
	v_readfirstlane_b32 s53, v39
	s_mov_b32 s3, exec_lo
	s_wait_loadcnt 0x1
	v_and_b32_e32 v44, s52, v44
	v_and_b32_e32 v45, s53, v45
	s_delay_alu instid0(VALU_DEP_1) | instskip(SKIP_1) | instid1(VALU_DEP_1)
	v_mul_u64_e32 v[38:39], 24, v[44:45]
	s_wait_loadcnt 0x0
	v_add_nc_u64_e32 v[38:39], v[34:35], v[38:39]
	s_wait_xcnt 0x0
	s_and_saveexec_b32 s54, s2
	s_cbranch_execz .LBB5_1034
; %bb.1033:                             ;   in Loop: Header=BB5_977 Depth=2
	v_mov_b32_e32 v0, s3
	global_store_b128 v[38:39], v[0:3], off offset:8
.LBB5_1034:                             ;   in Loop: Header=BB5_977 Depth=2
	s_wait_xcnt 0x0
	s_or_b32 exec_lo, exec_lo, s54
	v_cmp_lt_u64_e64 vcc_lo, s[48:49], 57
	v_lshlrev_b64_e32 v[44:45], 12, v[44:45]
	v_and_b32_e32 v5, 0xffffff1f, v18
	s_lshl_b32 s3, s50, 2
	s_delay_alu instid0(SALU_CYCLE_1) | instskip(SKIP_1) | instid1(VALU_DEP_3)
	s_add_co_i32 s3, s3, 28
	v_cndmask_b32_e32 v0, 0, v6, vcc_lo
	v_add_nc_u64_e32 v[36:37], v[36:37], v[44:45]
	s_delay_alu instid0(VALU_DEP_2) | instskip(NEXT) | instid1(VALU_DEP_2)
	v_or_b32_e32 v0, v5, v0
	v_readfirstlane_b32 s54, v36
	s_delay_alu instid0(VALU_DEP_3) | instskip(NEXT) | instid1(VALU_DEP_3)
	v_readfirstlane_b32 s55, v37
	v_and_or_b32 v18, 0x1e0, s3, v0
	s_clause 0x3
	global_store_b128 v42, v[18:21], s[54:55]
	global_store_b128 v42, v[22:25], s[54:55] offset:16
	global_store_b128 v42, v[26:29], s[54:55] offset:32
	;; [unrolled: 1-line block ×3, first 2 shown]
	s_wait_xcnt 0x0
	s_and_saveexec_b32 s3, s2
	s_cbranch_execz .LBB5_1042
; %bb.1035:                             ;   in Loop: Header=BB5_977 Depth=2
	s_clause 0x1
	global_load_b64 v[26:27], v1, s[34:35] offset:32 scope:SCOPE_SYS
	global_load_b64 v[18:19], v1, s[34:35] offset:40
	s_mov_b32 s54, exec_lo
	v_dual_mov_b32 v24, s52 :: v_dual_mov_b32 v25, s53
	s_wait_loadcnt 0x0
	v_and_b32_e32 v19, s53, v19
	v_and_b32_e32 v18, s52, v18
	s_delay_alu instid0(VALU_DEP_1) | instskip(NEXT) | instid1(VALU_DEP_1)
	v_mul_u64_e32 v[18:19], 24, v[18:19]
	v_add_nc_u64_e32 v[22:23], v[34:35], v[18:19]
	global_store_b64 v[22:23], v[26:27], off
	global_wb scope:SCOPE_SYS
	s_wait_storecnt 0x0
	s_wait_xcnt 0x0
	global_atomic_cmpswap_b64 v[20:21], v1, v[24:27], s[34:35] offset:32 th:TH_ATOMIC_RETURN scope:SCOPE_SYS
	s_wait_loadcnt 0x0
	v_cmpx_ne_u64_e64 v[20:21], v[26:27]
	s_cbranch_execz .LBB5_1038
; %bb.1036:                             ;   in Loop: Header=BB5_977 Depth=2
	s_mov_b32 s55, 0
.LBB5_1037:                             ;   Parent Loop BB5_270 Depth=1
                                        ;     Parent Loop BB5_977 Depth=2
                                        ; =>    This Inner Loop Header: Depth=3
	v_dual_mov_b32 v18, s52 :: v_dual_mov_b32 v19, s53
	s_sleep 1
	global_store_b64 v[22:23], v[20:21], off
	global_wb scope:SCOPE_SYS
	s_wait_storecnt 0x0
	s_wait_xcnt 0x0
	global_atomic_cmpswap_b64 v[18:19], v1, v[18:21], s[34:35] offset:32 th:TH_ATOMIC_RETURN scope:SCOPE_SYS
	s_wait_loadcnt 0x0
	v_cmp_eq_u64_e32 vcc_lo, v[18:19], v[20:21]
	v_mov_b64_e32 v[20:21], v[18:19]
	s_or_b32 s55, vcc_lo, s55
	s_delay_alu instid0(SALU_CYCLE_1)
	s_and_not1_b32 exec_lo, exec_lo, s55
	s_cbranch_execnz .LBB5_1037
.LBB5_1038:                             ;   in Loop: Header=BB5_977 Depth=2
	s_or_b32 exec_lo, exec_lo, s54
	global_load_b64 v[18:19], v1, s[34:35] offset:16
	s_mov_b32 s55, exec_lo
	s_mov_b32 s54, exec_lo
	v_mbcnt_lo_u32_b32 v0, s55, 0
	s_wait_xcnt 0x0
	s_delay_alu instid0(VALU_DEP_1)
	v_cmpx_eq_u32_e32 0, v0
	s_cbranch_execz .LBB5_1040
; %bb.1039:                             ;   in Loop: Header=BB5_977 Depth=2
	s_bcnt1_i32_b32 s55, s55
	s_delay_alu instid0(SALU_CYCLE_1)
	v_mov_b32_e32 v0, s55
	global_wb scope:SCOPE_SYS
	s_wait_loadcnt 0x0
	s_wait_storecnt 0x0
	global_atomic_add_u64 v[18:19], v[0:1], off offset:8 scope:SCOPE_SYS
.LBB5_1040:                             ;   in Loop: Header=BB5_977 Depth=2
	s_wait_xcnt 0x0
	s_or_b32 exec_lo, exec_lo, s54
	s_wait_loadcnt 0x0
	global_load_b64 v[20:21], v[18:19], off offset:16
	s_wait_loadcnt 0x0
	v_cmp_eq_u64_e32 vcc_lo, 0, v[20:21]
	s_cbranch_vccnz .LBB5_1042
; %bb.1041:                             ;   in Loop: Header=BB5_977 Depth=2
	global_load_b32 v0, v[18:19], off offset:24
	s_wait_loadcnt 0x0
	v_readfirstlane_b32 s54, v0
	global_wb scope:SCOPE_SYS
	s_wait_storecnt 0x0
	s_wait_xcnt 0x0
	global_store_b64 v[20:21], v[0:1], off scope:SCOPE_SYS
	s_and_b32 m0, s54, 0xffffff
	s_sendmsg sendmsg(MSG_INTERRUPT)
.LBB5_1042:                             ;   in Loop: Header=BB5_977 Depth=2
	s_wait_xcnt 0x0
	s_or_b32 exec_lo, exec_lo, s3
	v_mov_b32_e32 v43, v1
	s_delay_alu instid0(VALU_DEP_1)
	v_add_nc_u64_e32 v[18:19], v[36:37], v[42:43]
	s_branch .LBB5_1046
.LBB5_1043:                             ;   in Loop: Header=BB5_1046 Depth=3
	s_wait_xcnt 0x0
	s_or_b32 exec_lo, exec_lo, s3
	s_delay_alu instid0(VALU_DEP_1)
	v_readfirstlane_b32 s3, v0
	s_cmp_eq_u32 s3, 0
	s_cbranch_scc1 .LBB5_1045
; %bb.1044:                             ;   in Loop: Header=BB5_1046 Depth=3
	s_sleep 1
	s_cbranch_execnz .LBB5_1046
	s_branch .LBB5_1048
.LBB5_1045:                             ;   in Loop: Header=BB5_977 Depth=2
	s_branch .LBB5_1048
.LBB5_1046:                             ;   Parent Loop BB5_270 Depth=1
                                        ;     Parent Loop BB5_977 Depth=2
                                        ; =>    This Inner Loop Header: Depth=3
	v_mov_b32_e32 v0, 1
	s_and_saveexec_b32 s3, s2
	s_cbranch_execz .LBB5_1043
; %bb.1047:                             ;   in Loop: Header=BB5_1046 Depth=3
	global_load_b32 v0, v[38:39], off offset:20 scope:SCOPE_SYS
	s_wait_loadcnt 0x0
	global_inv scope:SCOPE_SYS
	v_and_b32_e32 v0, 1, v0
	s_branch .LBB5_1043
.LBB5_1048:                             ;   in Loop: Header=BB5_977 Depth=2
	global_load_b64 v[18:19], v[18:19], off
	s_wait_xcnt 0x0
	s_and_saveexec_b32 s54, s2
	s_cbranch_execz .LBB5_976
; %bb.1049:                             ;   in Loop: Header=BB5_977 Depth=2
	s_clause 0x2
	global_load_b64 v[20:21], v1, s[34:35] offset:40
	global_load_b64 v[28:29], v1, s[34:35] offset:24 scope:SCOPE_SYS
	global_load_b64 v[22:23], v1, s[34:35]
	s_wait_loadcnt 0x2
	v_readfirstlane_b32 s62, v20
	v_readfirstlane_b32 s63, v21
	s_add_nc_u64 s[2:3], s[62:63], 1
	s_delay_alu instid0(SALU_CYCLE_1) | instskip(NEXT) | instid1(SALU_CYCLE_1)
	s_add_nc_u64 s[52:53], s[2:3], s[52:53]
	s_cmp_eq_u64 s[52:53], 0
	s_cselect_b32 s3, s3, s53
	s_cselect_b32 s2, s2, s52
	s_delay_alu instid0(SALU_CYCLE_1) | instskip(SKIP_1) | instid1(SALU_CYCLE_1)
	v_dual_mov_b32 v27, s3 :: v_dual_mov_b32 v26, s2
	s_and_b64 s[52:53], s[2:3], s[62:63]
	s_mul_u64 s[52:53], s[52:53], 24
	s_wait_loadcnt 0x0
	v_add_nc_u64_e32 v[24:25], s[52:53], v[22:23]
	global_store_b64 v[24:25], v[28:29], off
	global_wb scope:SCOPE_SYS
	s_wait_storecnt 0x0
	s_wait_xcnt 0x0
	global_atomic_cmpswap_b64 v[22:23], v1, v[26:29], s[34:35] offset:24 th:TH_ATOMIC_RETURN scope:SCOPE_SYS
	s_wait_loadcnt 0x0
	v_cmp_ne_u64_e32 vcc_lo, v[22:23], v[28:29]
	s_and_b32 exec_lo, exec_lo, vcc_lo
	s_cbranch_execz .LBB5_976
; %bb.1050:                             ;   in Loop: Header=BB5_977 Depth=2
	s_mov_b32 s52, 0
.LBB5_1051:                             ;   Parent Loop BB5_270 Depth=1
                                        ;     Parent Loop BB5_977 Depth=2
                                        ; =>    This Inner Loop Header: Depth=3
	v_dual_mov_b32 v20, s2 :: v_dual_mov_b32 v21, s3
	s_sleep 1
	global_store_b64 v[24:25], v[22:23], off
	global_wb scope:SCOPE_SYS
	s_wait_storecnt 0x0
	s_wait_xcnt 0x0
	global_atomic_cmpswap_b64 v[20:21], v1, v[20:23], s[34:35] offset:24 th:TH_ATOMIC_RETURN scope:SCOPE_SYS
	s_wait_loadcnt 0x0
	v_cmp_eq_u64_e32 vcc_lo, v[20:21], v[22:23]
	v_mov_b64_e32 v[22:23], v[20:21]
	s_or_b32 s52, vcc_lo, s52
	s_delay_alu instid0(SALU_CYCLE_1)
	s_and_not1_b32 exec_lo, exec_lo, s52
	s_cbranch_execnz .LBB5_1051
	s_branch .LBB5_976
.LBB5_1052:                             ;   in Loop: Header=BB5_270 Depth=1
	s_branch .LBB5_1081
.LBB5_1053:                             ;   in Loop: Header=BB5_270 Depth=1
                                        ; implicit-def: $vgpr18_vgpr19
	s_cbranch_execz .LBB5_1081
; %bb.1054:                             ;   in Loop: Header=BB5_270 Depth=1
	v_readfirstlane_b32 s2, v56
	v_mov_b64_e32 v[6:7], 0
	s_delay_alu instid0(VALU_DEP_2)
	v_cmp_eq_u32_e64 s2, s2, v56
	s_and_saveexec_b32 s3, s2
	s_cbranch_execz .LBB5_1060
; %bb.1055:                             ;   in Loop: Header=BB5_270 Depth=1
	s_wait_loadcnt 0x0
	global_load_b64 v[20:21], v1, s[34:35] offset:24 scope:SCOPE_SYS
	s_wait_loadcnt 0x0
	global_inv scope:SCOPE_SYS
	s_clause 0x1
	global_load_b64 v[6:7], v1, s[34:35] offset:40
	global_load_b64 v[18:19], v1, s[34:35]
	s_mov_b32 s46, exec_lo
	s_wait_loadcnt 0x1
	v_and_b32_e32 v6, v6, v20
	v_and_b32_e32 v7, v7, v21
	s_delay_alu instid0(VALU_DEP_1) | instskip(SKIP_1) | instid1(VALU_DEP_1)
	v_mul_u64_e32 v[6:7], 24, v[6:7]
	s_wait_loadcnt 0x0
	v_add_nc_u64_e32 v[6:7], v[18:19], v[6:7]
	global_load_b64 v[18:19], v[6:7], off scope:SCOPE_SYS
	s_wait_xcnt 0x0
	s_wait_loadcnt 0x0
	global_atomic_cmpswap_b64 v[6:7], v1, v[18:21], s[34:35] offset:24 th:TH_ATOMIC_RETURN scope:SCOPE_SYS
	s_wait_loadcnt 0x0
	global_inv scope:SCOPE_SYS
	s_wait_xcnt 0x0
	v_cmpx_ne_u64_e64 v[6:7], v[20:21]
	s_cbranch_execz .LBB5_1059
; %bb.1056:                             ;   in Loop: Header=BB5_270 Depth=1
	s_mov_b32 s47, 0
.LBB5_1057:                             ;   Parent Loop BB5_270 Depth=1
                                        ; =>  This Inner Loop Header: Depth=2
	s_sleep 1
	s_clause 0x1
	global_load_b64 v[18:19], v1, s[34:35] offset:40
	global_load_b64 v[22:23], v1, s[34:35]
	v_mov_b64_e32 v[20:21], v[6:7]
	s_wait_loadcnt 0x1
	s_delay_alu instid0(VALU_DEP_1) | instskip(SKIP_1) | instid1(VALU_DEP_1)
	v_and_b32_e32 v0, v18, v20
	s_wait_loadcnt 0x0
	v_mad_nc_u64_u32 v[6:7], v0, 24, v[22:23]
	s_delay_alu instid0(VALU_DEP_3) | instskip(NEXT) | instid1(VALU_DEP_1)
	v_and_b32_e32 v0, v19, v21
	v_mad_u32 v7, v0, 24, v7
	global_load_b64 v[18:19], v[6:7], off scope:SCOPE_SYS
	s_wait_xcnt 0x0
	s_wait_loadcnt 0x0
	global_atomic_cmpswap_b64 v[6:7], v1, v[18:21], s[34:35] offset:24 th:TH_ATOMIC_RETURN scope:SCOPE_SYS
	s_wait_loadcnt 0x0
	global_inv scope:SCOPE_SYS
	v_cmp_eq_u64_e32 vcc_lo, v[6:7], v[20:21]
	s_or_b32 s47, vcc_lo, s47
	s_wait_xcnt 0x0
	s_and_not1_b32 exec_lo, exec_lo, s47
	s_cbranch_execnz .LBB5_1057
; %bb.1058:                             ;   in Loop: Header=BB5_270 Depth=1
	s_or_b32 exec_lo, exec_lo, s47
.LBB5_1059:                             ;   in Loop: Header=BB5_270 Depth=1
	s_delay_alu instid0(SALU_CYCLE_1)
	s_or_b32 exec_lo, exec_lo, s46
.LBB5_1060:                             ;   in Loop: Header=BB5_270 Depth=1
	s_delay_alu instid0(SALU_CYCLE_1)
	s_or_b32 exec_lo, exec_lo, s3
	s_wait_loadcnt 0x0
	s_clause 0x1
	global_load_b64 v[18:19], v1, s[34:35] offset:40
	global_load_b128 v[20:23], v1, s[34:35]
	v_readfirstlane_b32 s46, v6
	v_readfirstlane_b32 s47, v7
	s_mov_b32 s3, exec_lo
	s_wait_loadcnt 0x1
	v_and_b32_e32 v18, s46, v18
	v_and_b32_e32 v19, s47, v19
	s_delay_alu instid0(VALU_DEP_1) | instskip(SKIP_1) | instid1(VALU_DEP_1)
	v_mul_u64_e32 v[6:7], 24, v[18:19]
	s_wait_loadcnt 0x0
	v_add_nc_u64_e32 v[6:7], v[20:21], v[6:7]
	s_wait_xcnt 0x0
	s_and_saveexec_b32 s48, s2
	s_cbranch_execz .LBB5_1062
; %bb.1061:                             ;   in Loop: Header=BB5_270 Depth=1
	v_mov_b32_e32 v0, s3
	global_store_b128 v[6:7], v[0:3], off offset:8
.LBB5_1062:                             ;   in Loop: Header=BB5_270 Depth=1
	s_wait_xcnt 0x0
	s_or_b32 exec_lo, exec_lo, s48
	v_lshlrev_b64_e32 v[18:19], 12, v[18:19]
	v_mov_b64_e32 v[26:27], s[6:7]
	v_mov_b64_e32 v[24:25], s[4:5]
	v_and_or_b32 v16, 0xffffff1f, v16, 32
	s_delay_alu instid0(VALU_DEP_4) | instskip(SKIP_1) | instid1(VALU_DEP_2)
	v_add_nc_u64_e32 v[22:23], v[22:23], v[18:19]
	v_dual_mov_b32 v18, v1 :: v_dual_mov_b32 v19, v1
	v_readfirstlane_b32 s48, v22
	s_delay_alu instid0(VALU_DEP_3)
	v_readfirstlane_b32 s49, v23
	s_clause 0x3
	global_store_b128 v42, v[16:19], s[48:49]
	global_store_b128 v42, v[24:27], s[48:49] offset:16
	global_store_b128 v42, v[24:27], s[48:49] offset:32
	;; [unrolled: 1-line block ×3, first 2 shown]
	s_wait_xcnt 0x0
	s_and_saveexec_b32 s3, s2
	s_cbranch_execz .LBB5_1070
; %bb.1063:                             ;   in Loop: Header=BB5_270 Depth=1
	s_clause 0x1
	global_load_b64 v[26:27], v1, s[34:35] offset:32 scope:SCOPE_SYS
	global_load_b64 v[16:17], v1, s[34:35] offset:40
	s_mov_b32 s48, exec_lo
	v_dual_mov_b32 v24, s46 :: v_dual_mov_b32 v25, s47
	s_wait_loadcnt 0x0
	v_and_b32_e32 v17, s47, v17
	v_and_b32_e32 v16, s46, v16
	s_delay_alu instid0(VALU_DEP_1) | instskip(NEXT) | instid1(VALU_DEP_1)
	v_mul_u64_e32 v[16:17], 24, v[16:17]
	v_add_nc_u64_e32 v[20:21], v[20:21], v[16:17]
	global_store_b64 v[20:21], v[26:27], off
	global_wb scope:SCOPE_SYS
	s_wait_storecnt 0x0
	s_wait_xcnt 0x0
	global_atomic_cmpswap_b64 v[18:19], v1, v[24:27], s[34:35] offset:32 th:TH_ATOMIC_RETURN scope:SCOPE_SYS
	s_wait_loadcnt 0x0
	v_cmpx_ne_u64_e64 v[18:19], v[26:27]
	s_cbranch_execz .LBB5_1066
; %bb.1064:                             ;   in Loop: Header=BB5_270 Depth=1
	s_mov_b32 s49, 0
.LBB5_1065:                             ;   Parent Loop BB5_270 Depth=1
                                        ; =>  This Inner Loop Header: Depth=2
	v_dual_mov_b32 v16, s46 :: v_dual_mov_b32 v17, s47
	s_sleep 1
	global_store_b64 v[20:21], v[18:19], off
	global_wb scope:SCOPE_SYS
	s_wait_storecnt 0x0
	s_wait_xcnt 0x0
	global_atomic_cmpswap_b64 v[16:17], v1, v[16:19], s[34:35] offset:32 th:TH_ATOMIC_RETURN scope:SCOPE_SYS
	s_wait_loadcnt 0x0
	v_cmp_eq_u64_e32 vcc_lo, v[16:17], v[18:19]
	v_mov_b64_e32 v[18:19], v[16:17]
	s_or_b32 s49, vcc_lo, s49
	s_delay_alu instid0(SALU_CYCLE_1)
	s_and_not1_b32 exec_lo, exec_lo, s49
	s_cbranch_execnz .LBB5_1065
.LBB5_1066:                             ;   in Loop: Header=BB5_270 Depth=1
	s_or_b32 exec_lo, exec_lo, s48
	global_load_b64 v[16:17], v1, s[34:35] offset:16
	s_mov_b32 s49, exec_lo
	s_mov_b32 s48, exec_lo
	v_mbcnt_lo_u32_b32 v0, s49, 0
	s_wait_xcnt 0x0
	s_delay_alu instid0(VALU_DEP_1)
	v_cmpx_eq_u32_e32 0, v0
	s_cbranch_execz .LBB5_1068
; %bb.1067:                             ;   in Loop: Header=BB5_270 Depth=1
	s_bcnt1_i32_b32 s49, s49
	s_delay_alu instid0(SALU_CYCLE_1)
	v_mov_b32_e32 v0, s49
	global_wb scope:SCOPE_SYS
	s_wait_loadcnt 0x0
	s_wait_storecnt 0x0
	global_atomic_add_u64 v[16:17], v[0:1], off offset:8 scope:SCOPE_SYS
.LBB5_1068:                             ;   in Loop: Header=BB5_270 Depth=1
	s_wait_xcnt 0x0
	s_or_b32 exec_lo, exec_lo, s48
	s_wait_loadcnt 0x0
	global_load_b64 v[18:19], v[16:17], off offset:16
	s_wait_loadcnt 0x0
	v_cmp_eq_u64_e32 vcc_lo, 0, v[18:19]
	s_cbranch_vccnz .LBB5_1070
; %bb.1069:                             ;   in Loop: Header=BB5_270 Depth=1
	global_load_b32 v0, v[16:17], off offset:24
	s_wait_loadcnt 0x0
	v_readfirstlane_b32 s48, v0
	global_wb scope:SCOPE_SYS
	s_wait_storecnt 0x0
	s_wait_xcnt 0x0
	global_store_b64 v[18:19], v[0:1], off scope:SCOPE_SYS
	s_and_b32 m0, s48, 0xffffff
	s_sendmsg sendmsg(MSG_INTERRUPT)
.LBB5_1070:                             ;   in Loop: Header=BB5_270 Depth=1
	s_wait_xcnt 0x0
	s_or_b32 exec_lo, exec_lo, s3
	v_mov_b32_e32 v43, v1
	s_delay_alu instid0(VALU_DEP_1)
	v_add_nc_u64_e32 v[16:17], v[22:23], v[42:43]
	s_branch .LBB5_1074
.LBB5_1071:                             ;   in Loop: Header=BB5_1074 Depth=2
	s_wait_xcnt 0x0
	s_or_b32 exec_lo, exec_lo, s3
	s_delay_alu instid0(VALU_DEP_1)
	v_readfirstlane_b32 s3, v0
	s_cmp_eq_u32 s3, 0
	s_cbranch_scc1 .LBB5_1073
; %bb.1072:                             ;   in Loop: Header=BB5_1074 Depth=2
	s_sleep 1
	s_cbranch_execnz .LBB5_1074
	s_branch .LBB5_1076
.LBB5_1073:                             ;   in Loop: Header=BB5_270 Depth=1
	s_branch .LBB5_1076
.LBB5_1074:                             ;   Parent Loop BB5_270 Depth=1
                                        ; =>  This Inner Loop Header: Depth=2
	v_mov_b32_e32 v0, 1
	s_and_saveexec_b32 s3, s2
	s_cbranch_execz .LBB5_1071
; %bb.1075:                             ;   in Loop: Header=BB5_1074 Depth=2
	global_load_b32 v0, v[6:7], off offset:20 scope:SCOPE_SYS
	s_wait_loadcnt 0x0
	global_inv scope:SCOPE_SYS
	v_and_b32_e32 v0, 1, v0
	s_branch .LBB5_1071
.LBB5_1076:                             ;   in Loop: Header=BB5_270 Depth=1
	global_load_b64 v[18:19], v[16:17], off
	s_wait_xcnt 0x0
	s_and_saveexec_b32 s48, s2
	s_cbranch_execz .LBB5_1080
; %bb.1077:                             ;   in Loop: Header=BB5_270 Depth=1
	s_clause 0x2
	global_load_b64 v[6:7], v1, s[34:35] offset:40
	global_load_b64 v[24:25], v1, s[34:35] offset:24 scope:SCOPE_SYS
	global_load_b64 v[16:17], v1, s[34:35]
	s_wait_loadcnt 0x2
	v_readfirstlane_b32 s50, v6
	v_readfirstlane_b32 s51, v7
	s_add_nc_u64 s[2:3], s[50:51], 1
	s_delay_alu instid0(SALU_CYCLE_1) | instskip(NEXT) | instid1(SALU_CYCLE_1)
	s_add_nc_u64 s[46:47], s[2:3], s[46:47]
	s_cmp_eq_u64 s[46:47], 0
	s_cselect_b32 s3, s3, s47
	s_cselect_b32 s2, s2, s46
	s_delay_alu instid0(SALU_CYCLE_1) | instskip(SKIP_1) | instid1(SALU_CYCLE_1)
	v_dual_mov_b32 v23, s3 :: v_dual_mov_b32 v22, s2
	s_and_b64 s[46:47], s[2:3], s[50:51]
	s_mul_u64 s[46:47], s[46:47], 24
	s_wait_loadcnt 0x0
	v_add_nc_u64_e32 v[6:7], s[46:47], v[16:17]
	global_store_b64 v[6:7], v[24:25], off
	global_wb scope:SCOPE_SYS
	s_wait_storecnt 0x0
	s_wait_xcnt 0x0
	global_atomic_cmpswap_b64 v[22:23], v1, v[22:25], s[34:35] offset:24 th:TH_ATOMIC_RETURN scope:SCOPE_SYS
	s_wait_loadcnt 0x0
	v_cmp_ne_u64_e32 vcc_lo, v[22:23], v[24:25]
	s_and_b32 exec_lo, exec_lo, vcc_lo
	s_cbranch_execz .LBB5_1080
; %bb.1078:                             ;   in Loop: Header=BB5_270 Depth=1
	s_mov_b32 s46, 0
.LBB5_1079:                             ;   Parent Loop BB5_270 Depth=1
                                        ; =>  This Inner Loop Header: Depth=2
	v_dual_mov_b32 v20, s2 :: v_dual_mov_b32 v21, s3
	s_sleep 1
	global_store_b64 v[6:7], v[22:23], off
	global_wb scope:SCOPE_SYS
	s_wait_storecnt 0x0
	s_wait_xcnt 0x0
	global_atomic_cmpswap_b64 v[16:17], v1, v[20:23], s[34:35] offset:24 th:TH_ATOMIC_RETURN scope:SCOPE_SYS
	s_wait_loadcnt 0x0
	v_cmp_eq_u64_e32 vcc_lo, v[16:17], v[22:23]
	v_mov_b64_e32 v[22:23], v[16:17]
	s_or_b32 s46, vcc_lo, s46
	s_delay_alu instid0(SALU_CYCLE_1)
	s_and_not1_b32 exec_lo, exec_lo, s46
	s_cbranch_execnz .LBB5_1079
.LBB5_1080:                             ;   in Loop: Header=BB5_270 Depth=1
	s_or_b32 exec_lo, exec_lo, s48
.LBB5_1081:                             ;   in Loop: Header=BB5_270 Depth=1
	v_readfirstlane_b32 s2, v56
	v_mov_b64_e32 v[6:7], 0
	s_delay_alu instid0(VALU_DEP_2)
	v_cmp_eq_u32_e64 s2, s2, v56
	s_and_saveexec_b32 s3, s2
	s_cbranch_execz .LBB5_1087
; %bb.1082:                             ;   in Loop: Header=BB5_270 Depth=1
	global_load_b64 v[22:23], v1, s[34:35] offset:24 scope:SCOPE_SYS
	s_wait_loadcnt 0x0
	global_inv scope:SCOPE_SYS
	s_clause 0x1
	global_load_b64 v[6:7], v1, s[34:35] offset:40
	global_load_b64 v[16:17], v1, s[34:35]
	s_mov_b32 s46, exec_lo
	s_wait_loadcnt 0x1
	v_and_b32_e32 v6, v6, v22
	v_and_b32_e32 v7, v7, v23
	s_delay_alu instid0(VALU_DEP_1) | instskip(SKIP_1) | instid1(VALU_DEP_1)
	v_mul_u64_e32 v[6:7], 24, v[6:7]
	s_wait_loadcnt 0x0
	v_add_nc_u64_e32 v[6:7], v[16:17], v[6:7]
	global_load_b64 v[20:21], v[6:7], off scope:SCOPE_SYS
	s_wait_xcnt 0x0
	s_wait_loadcnt 0x0
	global_atomic_cmpswap_b64 v[6:7], v1, v[20:23], s[34:35] offset:24 th:TH_ATOMIC_RETURN scope:SCOPE_SYS
	s_wait_loadcnt 0x0
	global_inv scope:SCOPE_SYS
	s_wait_xcnt 0x0
	v_cmpx_ne_u64_e64 v[6:7], v[22:23]
	s_cbranch_execz .LBB5_1086
; %bb.1083:                             ;   in Loop: Header=BB5_270 Depth=1
	s_mov_b32 s47, 0
.LBB5_1084:                             ;   Parent Loop BB5_270 Depth=1
                                        ; =>  This Inner Loop Header: Depth=2
	s_sleep 1
	s_clause 0x1
	global_load_b64 v[16:17], v1, s[34:35] offset:40
	global_load_b64 v[20:21], v1, s[34:35]
	v_mov_b64_e32 v[22:23], v[6:7]
	s_wait_loadcnt 0x1
	s_delay_alu instid0(VALU_DEP_1) | instskip(SKIP_1) | instid1(VALU_DEP_1)
	v_and_b32_e32 v0, v16, v22
	s_wait_loadcnt 0x0
	v_mad_nc_u64_u32 v[6:7], v0, 24, v[20:21]
	s_delay_alu instid0(VALU_DEP_3) | instskip(NEXT) | instid1(VALU_DEP_1)
	v_and_b32_e32 v0, v17, v23
	v_mad_u32 v7, v0, 24, v7
	global_load_b64 v[20:21], v[6:7], off scope:SCOPE_SYS
	s_wait_xcnt 0x0
	s_wait_loadcnt 0x0
	global_atomic_cmpswap_b64 v[6:7], v1, v[20:23], s[34:35] offset:24 th:TH_ATOMIC_RETURN scope:SCOPE_SYS
	s_wait_loadcnt 0x0
	global_inv scope:SCOPE_SYS
	v_cmp_eq_u64_e32 vcc_lo, v[6:7], v[22:23]
	s_or_b32 s47, vcc_lo, s47
	s_wait_xcnt 0x0
	s_and_not1_b32 exec_lo, exec_lo, s47
	s_cbranch_execnz .LBB5_1084
; %bb.1085:                             ;   in Loop: Header=BB5_270 Depth=1
	s_or_b32 exec_lo, exec_lo, s47
.LBB5_1086:                             ;   in Loop: Header=BB5_270 Depth=1
	s_delay_alu instid0(SALU_CYCLE_1)
	s_or_b32 exec_lo, exec_lo, s46
.LBB5_1087:                             ;   in Loop: Header=BB5_270 Depth=1
	s_delay_alu instid0(SALU_CYCLE_1)
	s_or_b32 exec_lo, exec_lo, s3
	s_wait_loadcnt 0x0
	s_clause 0x1
	global_load_b64 v[16:17], v1, s[34:35] offset:40
	global_load_b128 v[22:25], v1, s[34:35]
	v_readfirstlane_b32 s46, v6
	v_readfirstlane_b32 s47, v7
	s_mov_b32 s3, exec_lo
	s_wait_loadcnt 0x1
	v_and_b32_e32 v16, s46, v16
	v_and_b32_e32 v17, s47, v17
	s_delay_alu instid0(VALU_DEP_1) | instskip(SKIP_1) | instid1(VALU_DEP_1)
	v_mul_u64_e32 v[6:7], 24, v[16:17]
	s_wait_loadcnt 0x0
	v_add_nc_u64_e32 v[6:7], v[22:23], v[6:7]
	s_wait_xcnt 0x0
	s_and_saveexec_b32 s48, s2
	s_cbranch_execz .LBB5_1089
; %bb.1088:                             ;   in Loop: Header=BB5_270 Depth=1
	v_mov_b32_e32 v0, s3
	global_store_b128 v[6:7], v[0:3], off offset:8
.LBB5_1089:                             ;   in Loop: Header=BB5_270 Depth=1
	s_wait_xcnt 0x0
	s_or_b32 exec_lo, exec_lo, s48
	v_lshlrev_b64_e32 v[16:17], 12, v[16:17]
	s_ashr_i32 s3, s60, 1
	v_and_or_b32 v18, 0xffffff1d, v18, 34
	v_dual_mov_b32 v21, v1 :: v_dual_mov_b32 v20, s3
	s_delay_alu instid0(VALU_DEP_3) | instskip(SKIP_2) | instid1(VALU_DEP_3)
	v_add_nc_u64_e32 v[16:17], v[24:25], v[16:17]
	v_mov_b64_e32 v[26:27], s[6:7]
	v_mov_b64_e32 v[24:25], s[4:5]
	v_readfirstlane_b32 s48, v16
	s_delay_alu instid0(VALU_DEP_4)
	v_readfirstlane_b32 s49, v17
	s_clause 0x3
	global_store_b128 v42, v[18:21], s[48:49]
	global_store_b128 v42, v[24:27], s[48:49] offset:16
	global_store_b128 v42, v[24:27], s[48:49] offset:32
	;; [unrolled: 1-line block ×3, first 2 shown]
	s_wait_xcnt 0x0
	s_and_saveexec_b32 s3, s2
	s_cbranch_execz .LBB5_1097
; %bb.1090:                             ;   in Loop: Header=BB5_270 Depth=1
	s_clause 0x1
	global_load_b64 v[24:25], v1, s[34:35] offset:32 scope:SCOPE_SYS
	global_load_b64 v[16:17], v1, s[34:35] offset:40
	s_mov_b32 s48, exec_lo
	s_wait_loadcnt 0x0
	v_and_b32_e32 v16, s46, v16
	v_and_b32_e32 v17, s47, v17
	s_delay_alu instid0(VALU_DEP_1) | instskip(NEXT) | instid1(VALU_DEP_1)
	v_mul_u64_e32 v[16:17], 24, v[16:17]
	v_add_nc_u64_e32 v[20:21], v[22:23], v[16:17]
	v_dual_mov_b32 v22, s46 :: v_dual_mov_b32 v23, s47
	global_store_b64 v[20:21], v[24:25], off
	global_wb scope:SCOPE_SYS
	s_wait_storecnt 0x0
	s_wait_xcnt 0x0
	global_atomic_cmpswap_b64 v[18:19], v1, v[22:25], s[34:35] offset:32 th:TH_ATOMIC_RETURN scope:SCOPE_SYS
	s_wait_loadcnt 0x0
	v_cmpx_ne_u64_e64 v[18:19], v[24:25]
	s_cbranch_execz .LBB5_1093
; %bb.1091:                             ;   in Loop: Header=BB5_270 Depth=1
	s_mov_b32 s49, 0
.LBB5_1092:                             ;   Parent Loop BB5_270 Depth=1
                                        ; =>  This Inner Loop Header: Depth=2
	v_dual_mov_b32 v16, s46 :: v_dual_mov_b32 v17, s47
	s_sleep 1
	global_store_b64 v[20:21], v[18:19], off
	global_wb scope:SCOPE_SYS
	s_wait_storecnt 0x0
	s_wait_xcnt 0x0
	global_atomic_cmpswap_b64 v[16:17], v1, v[16:19], s[34:35] offset:32 th:TH_ATOMIC_RETURN scope:SCOPE_SYS
	s_wait_loadcnt 0x0
	v_cmp_eq_u64_e32 vcc_lo, v[16:17], v[18:19]
	v_mov_b64_e32 v[18:19], v[16:17]
	s_or_b32 s49, vcc_lo, s49
	s_delay_alu instid0(SALU_CYCLE_1)
	s_and_not1_b32 exec_lo, exec_lo, s49
	s_cbranch_execnz .LBB5_1092
.LBB5_1093:                             ;   in Loop: Header=BB5_270 Depth=1
	s_or_b32 exec_lo, exec_lo, s48
	global_load_b64 v[16:17], v1, s[34:35] offset:16
	s_mov_b32 s49, exec_lo
	s_mov_b32 s48, exec_lo
	v_mbcnt_lo_u32_b32 v0, s49, 0
	s_wait_xcnt 0x0
	s_delay_alu instid0(VALU_DEP_1)
	v_cmpx_eq_u32_e32 0, v0
	s_cbranch_execz .LBB5_1095
; %bb.1094:                             ;   in Loop: Header=BB5_270 Depth=1
	s_bcnt1_i32_b32 s49, s49
	s_delay_alu instid0(SALU_CYCLE_1)
	v_mov_b32_e32 v0, s49
	global_wb scope:SCOPE_SYS
	s_wait_loadcnt 0x0
	s_wait_storecnt 0x0
	global_atomic_add_u64 v[16:17], v[0:1], off offset:8 scope:SCOPE_SYS
.LBB5_1095:                             ;   in Loop: Header=BB5_270 Depth=1
	s_wait_xcnt 0x0
	s_or_b32 exec_lo, exec_lo, s48
	s_wait_loadcnt 0x0
	global_load_b64 v[18:19], v[16:17], off offset:16
	s_wait_loadcnt 0x0
	v_cmp_eq_u64_e32 vcc_lo, 0, v[18:19]
	s_cbranch_vccnz .LBB5_1097
; %bb.1096:                             ;   in Loop: Header=BB5_270 Depth=1
	global_load_b32 v0, v[16:17], off offset:24
	s_wait_loadcnt 0x0
	v_readfirstlane_b32 s48, v0
	global_wb scope:SCOPE_SYS
	s_wait_storecnt 0x0
	s_wait_xcnt 0x0
	global_store_b64 v[18:19], v[0:1], off scope:SCOPE_SYS
	s_and_b32 m0, s48, 0xffffff
	s_sendmsg sendmsg(MSG_INTERRUPT)
.LBB5_1097:                             ;   in Loop: Header=BB5_270 Depth=1
	s_wait_xcnt 0x0
	s_or_b32 exec_lo, exec_lo, s3
	s_branch .LBB5_1101
.LBB5_1098:                             ;   in Loop: Header=BB5_1101 Depth=2
	s_wait_xcnt 0x0
	s_or_b32 exec_lo, exec_lo, s3
	s_delay_alu instid0(VALU_DEP_1)
	v_readfirstlane_b32 s3, v0
	s_cmp_eq_u32 s3, 0
	s_cbranch_scc1 .LBB5_1100
; %bb.1099:                             ;   in Loop: Header=BB5_1101 Depth=2
	s_sleep 1
	s_cbranch_execnz .LBB5_1101
	s_branch .LBB5_1103
.LBB5_1100:                             ;   in Loop: Header=BB5_270 Depth=1
	s_branch .LBB5_1103
.LBB5_1101:                             ;   Parent Loop BB5_270 Depth=1
                                        ; =>  This Inner Loop Header: Depth=2
	v_mov_b32_e32 v0, 1
	s_and_saveexec_b32 s3, s2
	s_cbranch_execz .LBB5_1098
; %bb.1102:                             ;   in Loop: Header=BB5_1101 Depth=2
	global_load_b32 v0, v[6:7], off offset:20 scope:SCOPE_SYS
	s_wait_loadcnt 0x0
	global_inv scope:SCOPE_SYS
	v_and_b32_e32 v0, 1, v0
	s_branch .LBB5_1098
.LBB5_1103:                             ;   in Loop: Header=BB5_270 Depth=1
	s_and_saveexec_b32 s48, s2
	s_cbranch_execz .LBB5_1107
; %bb.1104:                             ;   in Loop: Header=BB5_270 Depth=1
	s_clause 0x2
	global_load_b64 v[6:7], v1, s[34:35] offset:40
	global_load_b64 v[20:21], v1, s[34:35] offset:24 scope:SCOPE_SYS
	global_load_b64 v[16:17], v1, s[34:35]
	s_wait_loadcnt 0x2
	v_readfirstlane_b32 s50, v6
	v_readfirstlane_b32 s51, v7
	s_add_nc_u64 s[2:3], s[50:51], 1
	s_delay_alu instid0(SALU_CYCLE_1) | instskip(NEXT) | instid1(SALU_CYCLE_1)
	s_add_nc_u64 s[46:47], s[2:3], s[46:47]
	s_cmp_eq_u64 s[46:47], 0
	s_cselect_b32 s3, s3, s47
	s_cselect_b32 s2, s2, s46
	s_delay_alu instid0(SALU_CYCLE_1) | instskip(SKIP_1) | instid1(SALU_CYCLE_1)
	v_dual_mov_b32 v19, s3 :: v_dual_mov_b32 v18, s2
	s_and_b64 s[46:47], s[2:3], s[50:51]
	s_mul_u64 s[46:47], s[46:47], 24
	s_wait_loadcnt 0x0
	v_add_nc_u64_e32 v[6:7], s[46:47], v[16:17]
	global_store_b64 v[6:7], v[20:21], off
	global_wb scope:SCOPE_SYS
	s_wait_storecnt 0x0
	s_wait_xcnt 0x0
	global_atomic_cmpswap_b64 v[18:19], v1, v[18:21], s[34:35] offset:24 th:TH_ATOMIC_RETURN scope:SCOPE_SYS
	s_wait_loadcnt 0x0
	v_cmp_ne_u64_e32 vcc_lo, v[18:19], v[20:21]
	s_and_b32 exec_lo, exec_lo, vcc_lo
	s_cbranch_execz .LBB5_1107
; %bb.1105:                             ;   in Loop: Header=BB5_270 Depth=1
	s_mov_b32 s46, 0
.LBB5_1106:                             ;   Parent Loop BB5_270 Depth=1
                                        ; =>  This Inner Loop Header: Depth=2
	v_dual_mov_b32 v16, s2 :: v_dual_mov_b32 v17, s3
	s_sleep 1
	global_store_b64 v[6:7], v[18:19], off
	global_wb scope:SCOPE_SYS
	s_wait_storecnt 0x0
	s_wait_xcnt 0x0
	global_atomic_cmpswap_b64 v[16:17], v1, v[16:19], s[34:35] offset:24 th:TH_ATOMIC_RETURN scope:SCOPE_SYS
	s_wait_loadcnt 0x0
	v_cmp_eq_u64_e32 vcc_lo, v[16:17], v[18:19]
	v_mov_b64_e32 v[18:19], v[16:17]
	s_or_b32 s46, vcc_lo, s46
	s_delay_alu instid0(SALU_CYCLE_1)
	s_and_not1_b32 exec_lo, exec_lo, s46
	s_cbranch_execnz .LBB5_1106
.LBB5_1107:                             ;   in Loop: Header=BB5_270 Depth=1
	s_or_b32 exec_lo, exec_lo, s48
	s_branch .LBB5_1241
.LBB5_1108:                             ;   in Loop: Header=BB5_270 Depth=1
	v_readfirstlane_b32 s2, v56
	v_mov_b64_e32 v[6:7], 0
	s_delay_alu instid0(VALU_DEP_2)
	v_cmp_eq_u32_e64 s2, s2, v56
	s_and_saveexec_b32 s3, s2
	s_cbranch_execz .LBB5_1114
; %bb.1109:                             ;   in Loop: Header=BB5_270 Depth=1
	global_load_b64 v[18:19], v1, s[34:35] offset:24 scope:SCOPE_SYS
	s_wait_loadcnt 0x0
	global_inv scope:SCOPE_SYS
	s_clause 0x1
	global_load_b64 v[6:7], v1, s[34:35] offset:40
	global_load_b64 v[16:17], v1, s[34:35]
	s_mov_b32 s46, exec_lo
	s_wait_loadcnt 0x1
	v_and_b32_e32 v6, v6, v18
	v_and_b32_e32 v7, v7, v19
	s_delay_alu instid0(VALU_DEP_1) | instskip(SKIP_1) | instid1(VALU_DEP_1)
	v_mul_u64_e32 v[6:7], 24, v[6:7]
	s_wait_loadcnt 0x0
	v_add_nc_u64_e32 v[6:7], v[16:17], v[6:7]
	global_load_b64 v[16:17], v[6:7], off scope:SCOPE_SYS
	s_wait_xcnt 0x0
	s_wait_loadcnt 0x0
	global_atomic_cmpswap_b64 v[6:7], v1, v[16:19], s[34:35] offset:24 th:TH_ATOMIC_RETURN scope:SCOPE_SYS
	s_wait_loadcnt 0x0
	global_inv scope:SCOPE_SYS
	s_wait_xcnt 0x0
	v_cmpx_ne_u64_e64 v[6:7], v[18:19]
	s_cbranch_execz .LBB5_1113
; %bb.1110:                             ;   in Loop: Header=BB5_270 Depth=1
	s_mov_b32 s47, 0
.LBB5_1111:                             ;   Parent Loop BB5_270 Depth=1
                                        ; =>  This Inner Loop Header: Depth=2
	s_sleep 1
	s_clause 0x1
	global_load_b64 v[16:17], v1, s[34:35] offset:40
	global_load_b64 v[20:21], v1, s[34:35]
	v_mov_b64_e32 v[18:19], v[6:7]
	s_wait_loadcnt 0x1
	s_delay_alu instid0(VALU_DEP_1) | instskip(SKIP_1) | instid1(VALU_DEP_1)
	v_and_b32_e32 v0, v16, v18
	s_wait_loadcnt 0x0
	v_mad_nc_u64_u32 v[6:7], v0, 24, v[20:21]
	s_delay_alu instid0(VALU_DEP_3) | instskip(NEXT) | instid1(VALU_DEP_1)
	v_and_b32_e32 v0, v17, v19
	v_mad_u32 v7, v0, 24, v7
	global_load_b64 v[16:17], v[6:7], off scope:SCOPE_SYS
	s_wait_xcnt 0x0
	s_wait_loadcnt 0x0
	global_atomic_cmpswap_b64 v[6:7], v1, v[16:19], s[34:35] offset:24 th:TH_ATOMIC_RETURN scope:SCOPE_SYS
	s_wait_loadcnt 0x0
	global_inv scope:SCOPE_SYS
	v_cmp_eq_u64_e32 vcc_lo, v[6:7], v[18:19]
	s_or_b32 s47, vcc_lo, s47
	s_wait_xcnt 0x0
	s_and_not1_b32 exec_lo, exec_lo, s47
	s_cbranch_execnz .LBB5_1111
; %bb.1112:                             ;   in Loop: Header=BB5_270 Depth=1
	s_or_b32 exec_lo, exec_lo, s47
.LBB5_1113:                             ;   in Loop: Header=BB5_270 Depth=1
	s_delay_alu instid0(SALU_CYCLE_1)
	s_or_b32 exec_lo, exec_lo, s46
.LBB5_1114:                             ;   in Loop: Header=BB5_270 Depth=1
	s_delay_alu instid0(SALU_CYCLE_1)
	s_or_b32 exec_lo, exec_lo, s3
	s_clause 0x1
	global_load_b64 v[20:21], v1, s[34:35] offset:40
	global_load_b128 v[16:19], v1, s[34:35]
	v_readfirstlane_b32 s46, v6
	v_readfirstlane_b32 s47, v7
	s_mov_b32 s3, exec_lo
	s_wait_loadcnt 0x1
	v_and_b32_e32 v6, s46, v20
	v_and_b32_e32 v7, s47, v21
	s_delay_alu instid0(VALU_DEP_1) | instskip(SKIP_1) | instid1(VALU_DEP_1)
	v_mul_u64_e32 v[20:21], 24, v[6:7]
	s_wait_loadcnt 0x0
	v_add_nc_u64_e32 v[20:21], v[16:17], v[20:21]
	s_wait_xcnt 0x0
	s_and_saveexec_b32 s48, s2
	s_cbranch_execz .LBB5_1116
; %bb.1115:                             ;   in Loop: Header=BB5_270 Depth=1
	v_mov_b32_e32 v0, s3
	global_store_b128 v[20:21], v[0:3], off offset:8
.LBB5_1116:                             ;   in Loop: Header=BB5_270 Depth=1
	s_wait_xcnt 0x0
	s_or_b32 exec_lo, exec_lo, s48
	v_lshlrev_b64_e32 v[6:7], 12, v[6:7]
	v_mov_b64_e32 v[26:27], s[6:7]
	v_mov_b64_e32 v[24:25], s[4:5]
	v_mov_b32_e32 v5, v1
	s_delay_alu instid0(VALU_DEP_4) | instskip(SKIP_1) | instid1(VALU_DEP_2)
	v_add_nc_u64_e32 v[22:23], v[18:19], v[6:7]
	v_dual_mov_b32 v6, v1 :: v_dual_mov_b32 v7, v1
	v_readfirstlane_b32 s48, v22
	s_delay_alu instid0(VALU_DEP_3)
	v_readfirstlane_b32 s49, v23
	s_clause 0x3
	global_store_b128 v42, v[4:7], s[48:49]
	global_store_b128 v42, v[24:27], s[48:49] offset:16
	global_store_b128 v42, v[24:27], s[48:49] offset:32
	;; [unrolled: 1-line block ×3, first 2 shown]
	s_wait_xcnt 0x0
	s_and_saveexec_b32 s3, s2
	s_cbranch_execz .LBB5_1124
; %bb.1117:                             ;   in Loop: Header=BB5_270 Depth=1
	s_clause 0x1
	global_load_b64 v[26:27], v1, s[34:35] offset:32 scope:SCOPE_SYS
	global_load_b64 v[6:7], v1, s[34:35] offset:40
	s_mov_b32 s48, exec_lo
	v_dual_mov_b32 v24, s46 :: v_dual_mov_b32 v25, s47
	s_wait_loadcnt 0x0
	v_and_b32_e32 v7, s47, v7
	v_and_b32_e32 v6, s46, v6
	s_delay_alu instid0(VALU_DEP_1) | instskip(NEXT) | instid1(VALU_DEP_1)
	v_mul_u64_e32 v[6:7], 24, v[6:7]
	v_add_nc_u64_e32 v[6:7], v[16:17], v[6:7]
	global_store_b64 v[6:7], v[26:27], off
	global_wb scope:SCOPE_SYS
	s_wait_storecnt 0x0
	s_wait_xcnt 0x0
	global_atomic_cmpswap_b64 v[18:19], v1, v[24:27], s[34:35] offset:32 th:TH_ATOMIC_RETURN scope:SCOPE_SYS
	s_wait_loadcnt 0x0
	v_cmpx_ne_u64_e64 v[18:19], v[26:27]
	s_cbranch_execz .LBB5_1120
; %bb.1118:                             ;   in Loop: Header=BB5_270 Depth=1
	s_mov_b32 s49, 0
.LBB5_1119:                             ;   Parent Loop BB5_270 Depth=1
                                        ; =>  This Inner Loop Header: Depth=2
	v_dual_mov_b32 v16, s46 :: v_dual_mov_b32 v17, s47
	s_sleep 1
	global_store_b64 v[6:7], v[18:19], off
	global_wb scope:SCOPE_SYS
	s_wait_storecnt 0x0
	s_wait_xcnt 0x0
	global_atomic_cmpswap_b64 v[16:17], v1, v[16:19], s[34:35] offset:32 th:TH_ATOMIC_RETURN scope:SCOPE_SYS
	s_wait_loadcnt 0x0
	v_cmp_eq_u64_e32 vcc_lo, v[16:17], v[18:19]
	v_mov_b64_e32 v[18:19], v[16:17]
	s_or_b32 s49, vcc_lo, s49
	s_delay_alu instid0(SALU_CYCLE_1)
	s_and_not1_b32 exec_lo, exec_lo, s49
	s_cbranch_execnz .LBB5_1119
.LBB5_1120:                             ;   in Loop: Header=BB5_270 Depth=1
	s_or_b32 exec_lo, exec_lo, s48
	global_load_b64 v[6:7], v1, s[34:35] offset:16
	s_mov_b32 s49, exec_lo
	s_mov_b32 s48, exec_lo
	v_mbcnt_lo_u32_b32 v0, s49, 0
	s_wait_xcnt 0x0
	s_delay_alu instid0(VALU_DEP_1)
	v_cmpx_eq_u32_e32 0, v0
	s_cbranch_execz .LBB5_1122
; %bb.1121:                             ;   in Loop: Header=BB5_270 Depth=1
	s_bcnt1_i32_b32 s49, s49
	s_delay_alu instid0(SALU_CYCLE_1)
	v_mov_b32_e32 v0, s49
	global_wb scope:SCOPE_SYS
	s_wait_loadcnt 0x0
	s_wait_storecnt 0x0
	global_atomic_add_u64 v[6:7], v[0:1], off offset:8 scope:SCOPE_SYS
.LBB5_1122:                             ;   in Loop: Header=BB5_270 Depth=1
	s_wait_xcnt 0x0
	s_or_b32 exec_lo, exec_lo, s48
	s_wait_loadcnt 0x0
	global_load_b64 v[16:17], v[6:7], off offset:16
	s_wait_loadcnt 0x0
	v_cmp_eq_u64_e32 vcc_lo, 0, v[16:17]
	s_cbranch_vccnz .LBB5_1124
; %bb.1123:                             ;   in Loop: Header=BB5_270 Depth=1
	global_load_b32 v0, v[6:7], off offset:24
	s_wait_loadcnt 0x0
	v_readfirstlane_b32 s48, v0
	global_wb scope:SCOPE_SYS
	s_wait_storecnt 0x0
	s_wait_xcnt 0x0
	global_store_b64 v[16:17], v[0:1], off scope:SCOPE_SYS
	s_and_b32 m0, s48, 0xffffff
	s_sendmsg sendmsg(MSG_INTERRUPT)
.LBB5_1124:                             ;   in Loop: Header=BB5_270 Depth=1
	s_wait_xcnt 0x0
	s_or_b32 exec_lo, exec_lo, s3
	v_mov_b32_e32 v43, v1
	s_delay_alu instid0(VALU_DEP_1)
	v_add_nc_u64_e32 v[6:7], v[22:23], v[42:43]
	s_branch .LBB5_1128
.LBB5_1125:                             ;   in Loop: Header=BB5_1128 Depth=2
	s_wait_xcnt 0x0
	s_or_b32 exec_lo, exec_lo, s3
	s_delay_alu instid0(VALU_DEP_1)
	v_readfirstlane_b32 s3, v0
	s_cmp_eq_u32 s3, 0
	s_cbranch_scc1 .LBB5_1127
; %bb.1126:                             ;   in Loop: Header=BB5_1128 Depth=2
	s_sleep 1
	s_cbranch_execnz .LBB5_1128
	s_branch .LBB5_1130
.LBB5_1127:                             ;   in Loop: Header=BB5_270 Depth=1
	s_branch .LBB5_1130
.LBB5_1128:                             ;   Parent Loop BB5_270 Depth=1
                                        ; =>  This Inner Loop Header: Depth=2
	v_mov_b32_e32 v0, 1
	s_and_saveexec_b32 s3, s2
	s_cbranch_execz .LBB5_1125
; %bb.1129:                             ;   in Loop: Header=BB5_1128 Depth=2
	global_load_b32 v0, v[20:21], off offset:20 scope:SCOPE_SYS
	s_wait_loadcnt 0x0
	global_inv scope:SCOPE_SYS
	v_and_b32_e32 v0, 1, v0
	s_branch .LBB5_1125
.LBB5_1130:                             ;   in Loop: Header=BB5_270 Depth=1
	global_load_b64 v[16:17], v[6:7], off
	s_wait_xcnt 0x0
	s_and_saveexec_b32 s48, s2
	s_cbranch_execz .LBB5_1134
; %bb.1131:                             ;   in Loop: Header=BB5_270 Depth=1
	s_clause 0x2
	global_load_b64 v[6:7], v1, s[34:35] offset:40
	global_load_b64 v[22:23], v1, s[34:35] offset:24 scope:SCOPE_SYS
	global_load_b64 v[18:19], v1, s[34:35]
	s_wait_loadcnt 0x2
	v_readfirstlane_b32 s50, v6
	v_readfirstlane_b32 s51, v7
	s_add_nc_u64 s[2:3], s[50:51], 1
	s_delay_alu instid0(SALU_CYCLE_1) | instskip(NEXT) | instid1(SALU_CYCLE_1)
	s_add_nc_u64 s[46:47], s[2:3], s[46:47]
	s_cmp_eq_u64 s[46:47], 0
	s_cselect_b32 s3, s3, s47
	s_cselect_b32 s2, s2, s46
	s_delay_alu instid0(SALU_CYCLE_1) | instskip(SKIP_1) | instid1(SALU_CYCLE_1)
	v_dual_mov_b32 v21, s3 :: v_dual_mov_b32 v20, s2
	s_and_b64 s[46:47], s[2:3], s[50:51]
	s_mul_u64 s[46:47], s[46:47], 24
	s_wait_loadcnt 0x0
	v_add_nc_u64_e32 v[6:7], s[46:47], v[18:19]
	global_store_b64 v[6:7], v[22:23], off
	global_wb scope:SCOPE_SYS
	s_wait_storecnt 0x0
	s_wait_xcnt 0x0
	global_atomic_cmpswap_b64 v[20:21], v1, v[20:23], s[34:35] offset:24 th:TH_ATOMIC_RETURN scope:SCOPE_SYS
	s_wait_loadcnt 0x0
	v_cmp_ne_u64_e32 vcc_lo, v[20:21], v[22:23]
	s_and_b32 exec_lo, exec_lo, vcc_lo
	s_cbranch_execz .LBB5_1134
; %bb.1132:                             ;   in Loop: Header=BB5_270 Depth=1
	s_mov_b32 s46, 0
.LBB5_1133:                             ;   Parent Loop BB5_270 Depth=1
                                        ; =>  This Inner Loop Header: Depth=2
	v_dual_mov_b32 v18, s2 :: v_dual_mov_b32 v19, s3
	s_sleep 1
	global_store_b64 v[6:7], v[20:21], off
	global_wb scope:SCOPE_SYS
	s_wait_storecnt 0x0
	s_wait_xcnt 0x0
	global_atomic_cmpswap_b64 v[18:19], v1, v[18:21], s[34:35] offset:24 th:TH_ATOMIC_RETURN scope:SCOPE_SYS
	s_wait_loadcnt 0x0
	v_cmp_eq_u64_e32 vcc_lo, v[18:19], v[20:21]
	v_mov_b64_e32 v[20:21], v[18:19]
	s_or_b32 s46, vcc_lo, s46
	s_delay_alu instid0(SALU_CYCLE_1)
	s_and_not1_b32 exec_lo, exec_lo, s46
	s_cbranch_execnz .LBB5_1133
.LBB5_1134:                             ;   in Loop: Header=BB5_270 Depth=1
	s_or_b32 exec_lo, exec_lo, s48
	s_delay_alu instid0(SALU_CYCLE_1)
	s_and_b32 vcc_lo, exec_lo, s57
	s_cbranch_vccz .LBB5_1213
; %bb.1135:                             ;   in Loop: Header=BB5_270 Depth=1
	s_wait_loadcnt 0x0
	v_dual_mov_b32 v19, v17 :: v_dual_bitop2_b32 v18, -3, v16 bitop3:0x40
	s_mov_b64 s[46:47], 2
	s_mov_b64 s[48:49], s[10:11]
	s_branch .LBB5_1137
.LBB5_1136:                             ;   in Loop: Header=BB5_1137 Depth=2
	s_or_b32 exec_lo, exec_lo, s54
	s_sub_nc_u64 s[46:47], s[46:47], s[50:51]
	s_add_nc_u64 s[48:49], s[48:49], s[50:51]
	s_cmp_eq_u64 s[46:47], 0
	s_cbranch_scc1 .LBB5_1212
.LBB5_1137:                             ;   Parent Loop BB5_270 Depth=1
                                        ; =>  This Loop Header: Depth=2
                                        ;       Child Loop BB5_1140 Depth 3
                                        ;       Child Loop BB5_1147 Depth 3
	;; [unrolled: 1-line block ×11, first 2 shown]
	v_min_u64 v[6:7], s[46:47], 56
	v_cmp_gt_u64_e64 s2, s[46:47], 7
	s_and_b32 vcc_lo, exec_lo, s2
	v_readfirstlane_b32 s50, v6
	v_readfirstlane_b32 s51, v7
	s_cbranch_vccnz .LBB5_1142
; %bb.1138:                             ;   in Loop: Header=BB5_1137 Depth=2
	s_wait_loadcnt 0x0
	v_mov_b64_e32 v[20:21], 0
	s_cmp_eq_u64 s[46:47], 0
	s_cbranch_scc1 .LBB5_1141
; %bb.1139:                             ;   in Loop: Header=BB5_1137 Depth=2
	s_mov_b64 s[2:3], 0
	s_mov_b64 s[52:53], 0
.LBB5_1140:                             ;   Parent Loop BB5_270 Depth=1
                                        ;     Parent Loop BB5_1137 Depth=2
                                        ; =>    This Inner Loop Header: Depth=3
	s_wait_xcnt 0x0
	s_add_nc_u64 s[54:55], s[48:49], s[52:53]
	s_add_nc_u64 s[52:53], s[52:53], 1
	global_load_u8 v0, v1, s[54:55]
	s_cmp_lg_u32 s50, s52
	s_wait_loadcnt 0x0
	v_and_b32_e32 v0, 0xffff, v0
	s_delay_alu instid0(VALU_DEP_1) | instskip(SKIP_1) | instid1(VALU_DEP_1)
	v_lshlrev_b64_e32 v[6:7], s2, v[0:1]
	s_add_nc_u64 s[2:3], s[2:3], 8
	v_or_b32_e32 v20, v6, v20
	s_delay_alu instid0(VALU_DEP_2)
	v_or_b32_e32 v21, v7, v21
	s_cbranch_scc1 .LBB5_1140
.LBB5_1141:                             ;   in Loop: Header=BB5_1137 Depth=2
	s_mov_b64 s[2:3], s[48:49]
	s_mov_b32 s60, 0
	s_cbranch_execz .LBB5_1143
	s_branch .LBB5_1144
.LBB5_1142:                             ;   in Loop: Header=BB5_1137 Depth=2
	s_add_nc_u64 s[2:3], s[48:49], 8
	s_mov_b32 s60, 0
.LBB5_1143:                             ;   in Loop: Header=BB5_1137 Depth=2
	s_wait_loadcnt 0x0
	global_load_b64 v[20:21], v1, s[48:49]
	s_add_co_i32 s60, s50, -8
.LBB5_1144:                             ;   in Loop: Header=BB5_1137 Depth=2
	s_delay_alu instid0(SALU_CYCLE_1)
	s_cmp_gt_u32 s60, 7
	s_cbranch_scc1 .LBB5_1149
; %bb.1145:                             ;   in Loop: Header=BB5_1137 Depth=2
	v_mov_b64_e32 v[22:23], 0
	s_cmp_eq_u32 s60, 0
	s_cbranch_scc1 .LBB5_1148
; %bb.1146:                             ;   in Loop: Header=BB5_1137 Depth=2
	s_mov_b64 s[52:53], 0
	s_wait_xcnt 0x0
	s_mov_b64 s[54:55], 0
.LBB5_1147:                             ;   Parent Loop BB5_270 Depth=1
                                        ;     Parent Loop BB5_1137 Depth=2
                                        ; =>    This Inner Loop Header: Depth=3
	s_wait_xcnt 0x0
	s_add_nc_u64 s[62:63], s[2:3], s[54:55]
	s_add_nc_u64 s[54:55], s[54:55], 1
	global_load_u8 v0, v1, s[62:63]
	s_cmp_lg_u32 s60, s54
	s_wait_loadcnt 0x0
	v_and_b32_e32 v0, 0xffff, v0
	s_delay_alu instid0(VALU_DEP_1) | instskip(SKIP_1) | instid1(VALU_DEP_1)
	v_lshlrev_b64_e32 v[6:7], s52, v[0:1]
	s_add_nc_u64 s[52:53], s[52:53], 8
	v_or_b32_e32 v22, v6, v22
	s_delay_alu instid0(VALU_DEP_2)
	v_or_b32_e32 v23, v7, v23
	s_cbranch_scc1 .LBB5_1147
.LBB5_1148:                             ;   in Loop: Header=BB5_1137 Depth=2
	s_wait_xcnt 0x0
	s_mov_b64 s[52:53], s[2:3]
	s_mov_b32 s61, 0
	s_cbranch_execz .LBB5_1150
	s_branch .LBB5_1151
.LBB5_1149:                             ;   in Loop: Header=BB5_1137 Depth=2
	s_add_nc_u64 s[52:53], s[2:3], 8
	s_wait_xcnt 0x0
                                        ; implicit-def: $vgpr22_vgpr23
	s_mov_b32 s61, 0
.LBB5_1150:                             ;   in Loop: Header=BB5_1137 Depth=2
	global_load_b64 v[22:23], v1, s[2:3]
	s_add_co_i32 s61, s60, -8
.LBB5_1151:                             ;   in Loop: Header=BB5_1137 Depth=2
	s_delay_alu instid0(SALU_CYCLE_1)
	s_cmp_gt_u32 s61, 7
	s_cbranch_scc1 .LBB5_1156
; %bb.1152:                             ;   in Loop: Header=BB5_1137 Depth=2
	v_mov_b64_e32 v[24:25], 0
	s_cmp_eq_u32 s61, 0
	s_cbranch_scc1 .LBB5_1155
; %bb.1153:                             ;   in Loop: Header=BB5_1137 Depth=2
	s_wait_xcnt 0x0
	s_mov_b64 s[2:3], 0
	s_mov_b64 s[54:55], 0
.LBB5_1154:                             ;   Parent Loop BB5_270 Depth=1
                                        ;     Parent Loop BB5_1137 Depth=2
                                        ; =>    This Inner Loop Header: Depth=3
	s_wait_xcnt 0x0
	s_add_nc_u64 s[62:63], s[52:53], s[54:55]
	s_add_nc_u64 s[54:55], s[54:55], 1
	global_load_u8 v0, v1, s[62:63]
	s_cmp_lg_u32 s61, s54
	s_wait_loadcnt 0x0
	v_and_b32_e32 v0, 0xffff, v0
	s_delay_alu instid0(VALU_DEP_1) | instskip(SKIP_1) | instid1(VALU_DEP_1)
	v_lshlrev_b64_e32 v[6:7], s2, v[0:1]
	s_add_nc_u64 s[2:3], s[2:3], 8
	v_or_b32_e32 v24, v6, v24
	s_delay_alu instid0(VALU_DEP_2)
	v_or_b32_e32 v25, v7, v25
	s_cbranch_scc1 .LBB5_1154
.LBB5_1155:                             ;   in Loop: Header=BB5_1137 Depth=2
	s_wait_xcnt 0x0
	s_mov_b64 s[2:3], s[52:53]
	s_mov_b32 s60, 0
	s_cbranch_execz .LBB5_1157
	s_branch .LBB5_1158
.LBB5_1156:                             ;   in Loop: Header=BB5_1137 Depth=2
	s_wait_xcnt 0x0
	s_add_nc_u64 s[2:3], s[52:53], 8
	s_mov_b32 s60, 0
.LBB5_1157:                             ;   in Loop: Header=BB5_1137 Depth=2
	global_load_b64 v[24:25], v1, s[52:53]
	s_add_co_i32 s60, s61, -8
.LBB5_1158:                             ;   in Loop: Header=BB5_1137 Depth=2
	s_delay_alu instid0(SALU_CYCLE_1)
	s_cmp_gt_u32 s60, 7
	s_cbranch_scc1 .LBB5_1163
; %bb.1159:                             ;   in Loop: Header=BB5_1137 Depth=2
	v_mov_b64_e32 v[26:27], 0
	s_cmp_eq_u32 s60, 0
	s_cbranch_scc1 .LBB5_1162
; %bb.1160:                             ;   in Loop: Header=BB5_1137 Depth=2
	s_wait_xcnt 0x0
	s_mov_b64 s[52:53], 0
	s_mov_b64 s[54:55], 0
.LBB5_1161:                             ;   Parent Loop BB5_270 Depth=1
                                        ;     Parent Loop BB5_1137 Depth=2
                                        ; =>    This Inner Loop Header: Depth=3
	s_wait_xcnt 0x0
	s_add_nc_u64 s[62:63], s[2:3], s[54:55]
	s_add_nc_u64 s[54:55], s[54:55], 1
	global_load_u8 v0, v1, s[62:63]
	s_cmp_lg_u32 s60, s54
	s_wait_loadcnt 0x0
	v_and_b32_e32 v0, 0xffff, v0
	s_delay_alu instid0(VALU_DEP_1) | instskip(SKIP_1) | instid1(VALU_DEP_1)
	v_lshlrev_b64_e32 v[6:7], s52, v[0:1]
	s_add_nc_u64 s[52:53], s[52:53], 8
	v_or_b32_e32 v26, v6, v26
	s_delay_alu instid0(VALU_DEP_2)
	v_or_b32_e32 v27, v7, v27
	s_cbranch_scc1 .LBB5_1161
.LBB5_1162:                             ;   in Loop: Header=BB5_1137 Depth=2
	s_wait_xcnt 0x0
	s_mov_b64 s[52:53], s[2:3]
	s_mov_b32 s61, 0
	s_cbranch_execz .LBB5_1164
	s_branch .LBB5_1165
.LBB5_1163:                             ;   in Loop: Header=BB5_1137 Depth=2
	s_wait_xcnt 0x0
	s_add_nc_u64 s[52:53], s[2:3], 8
                                        ; implicit-def: $vgpr26_vgpr27
	s_mov_b32 s61, 0
.LBB5_1164:                             ;   in Loop: Header=BB5_1137 Depth=2
	global_load_b64 v[26:27], v1, s[2:3]
	s_add_co_i32 s61, s60, -8
.LBB5_1165:                             ;   in Loop: Header=BB5_1137 Depth=2
	s_delay_alu instid0(SALU_CYCLE_1)
	s_cmp_gt_u32 s61, 7
	s_cbranch_scc1 .LBB5_1170
; %bb.1166:                             ;   in Loop: Header=BB5_1137 Depth=2
	v_mov_b64_e32 v[28:29], 0
	s_cmp_eq_u32 s61, 0
	s_cbranch_scc1 .LBB5_1169
; %bb.1167:                             ;   in Loop: Header=BB5_1137 Depth=2
	s_wait_xcnt 0x0
	s_mov_b64 s[2:3], 0
	s_mov_b64 s[54:55], 0
.LBB5_1168:                             ;   Parent Loop BB5_270 Depth=1
                                        ;     Parent Loop BB5_1137 Depth=2
                                        ; =>    This Inner Loop Header: Depth=3
	s_wait_xcnt 0x0
	s_add_nc_u64 s[62:63], s[52:53], s[54:55]
	s_add_nc_u64 s[54:55], s[54:55], 1
	global_load_u8 v0, v1, s[62:63]
	s_cmp_lg_u32 s61, s54
	s_wait_loadcnt 0x0
	v_and_b32_e32 v0, 0xffff, v0
	s_delay_alu instid0(VALU_DEP_1) | instskip(SKIP_1) | instid1(VALU_DEP_1)
	v_lshlrev_b64_e32 v[6:7], s2, v[0:1]
	s_add_nc_u64 s[2:3], s[2:3], 8
	v_or_b32_e32 v28, v6, v28
	s_delay_alu instid0(VALU_DEP_2)
	v_or_b32_e32 v29, v7, v29
	s_cbranch_scc1 .LBB5_1168
.LBB5_1169:                             ;   in Loop: Header=BB5_1137 Depth=2
	s_wait_xcnt 0x0
	s_mov_b64 s[2:3], s[52:53]
	s_mov_b32 s60, 0
	s_cbranch_execz .LBB5_1171
	s_branch .LBB5_1172
.LBB5_1170:                             ;   in Loop: Header=BB5_1137 Depth=2
	s_wait_xcnt 0x0
	s_add_nc_u64 s[2:3], s[52:53], 8
	s_mov_b32 s60, 0
.LBB5_1171:                             ;   in Loop: Header=BB5_1137 Depth=2
	global_load_b64 v[28:29], v1, s[52:53]
	s_add_co_i32 s60, s61, -8
.LBB5_1172:                             ;   in Loop: Header=BB5_1137 Depth=2
	s_delay_alu instid0(SALU_CYCLE_1)
	s_cmp_gt_u32 s60, 7
	s_cbranch_scc1 .LBB5_1177
; %bb.1173:                             ;   in Loop: Header=BB5_1137 Depth=2
	v_mov_b64_e32 v[30:31], 0
	s_cmp_eq_u32 s60, 0
	s_cbranch_scc1 .LBB5_1176
; %bb.1174:                             ;   in Loop: Header=BB5_1137 Depth=2
	s_wait_xcnt 0x0
	s_mov_b64 s[52:53], 0
	s_mov_b64 s[54:55], 0
.LBB5_1175:                             ;   Parent Loop BB5_270 Depth=1
                                        ;     Parent Loop BB5_1137 Depth=2
                                        ; =>    This Inner Loop Header: Depth=3
	s_wait_xcnt 0x0
	s_add_nc_u64 s[62:63], s[2:3], s[54:55]
	s_add_nc_u64 s[54:55], s[54:55], 1
	global_load_u8 v0, v1, s[62:63]
	s_cmp_lg_u32 s60, s54
	s_wait_loadcnt 0x0
	v_and_b32_e32 v0, 0xffff, v0
	s_delay_alu instid0(VALU_DEP_1) | instskip(SKIP_1) | instid1(VALU_DEP_1)
	v_lshlrev_b64_e32 v[6:7], s52, v[0:1]
	s_add_nc_u64 s[52:53], s[52:53], 8
	v_or_b32_e32 v30, v6, v30
	s_delay_alu instid0(VALU_DEP_2)
	v_or_b32_e32 v31, v7, v31
	s_cbranch_scc1 .LBB5_1175
.LBB5_1176:                             ;   in Loop: Header=BB5_1137 Depth=2
	s_wait_xcnt 0x0
	s_mov_b64 s[52:53], s[2:3]
	s_mov_b32 s61, 0
	s_cbranch_execz .LBB5_1178
	s_branch .LBB5_1179
.LBB5_1177:                             ;   in Loop: Header=BB5_1137 Depth=2
	s_wait_xcnt 0x0
	s_add_nc_u64 s[52:53], s[2:3], 8
                                        ; implicit-def: $vgpr30_vgpr31
	s_mov_b32 s61, 0
.LBB5_1178:                             ;   in Loop: Header=BB5_1137 Depth=2
	global_load_b64 v[30:31], v1, s[2:3]
	s_add_co_i32 s61, s60, -8
.LBB5_1179:                             ;   in Loop: Header=BB5_1137 Depth=2
	s_delay_alu instid0(SALU_CYCLE_1)
	s_cmp_gt_u32 s61, 7
	s_cbranch_scc1 .LBB5_1184
; %bb.1180:                             ;   in Loop: Header=BB5_1137 Depth=2
	v_mov_b64_e32 v[32:33], 0
	s_cmp_eq_u32 s61, 0
	s_cbranch_scc1 .LBB5_1183
; %bb.1181:                             ;   in Loop: Header=BB5_1137 Depth=2
	s_wait_xcnt 0x0
	s_mov_b64 s[2:3], 0
	s_mov_b64 s[54:55], s[52:53]
.LBB5_1182:                             ;   Parent Loop BB5_270 Depth=1
                                        ;     Parent Loop BB5_1137 Depth=2
                                        ; =>    This Inner Loop Header: Depth=3
	global_load_u8 v0, v1, s[54:55]
	s_add_co_i32 s61, s61, -1
	s_wait_xcnt 0x0
	s_add_nc_u64 s[54:55], s[54:55], 1
	s_cmp_lg_u32 s61, 0
	s_wait_loadcnt 0x0
	v_and_b32_e32 v0, 0xffff, v0
	s_delay_alu instid0(VALU_DEP_1) | instskip(SKIP_1) | instid1(VALU_DEP_1)
	v_lshlrev_b64_e32 v[6:7], s2, v[0:1]
	s_add_nc_u64 s[2:3], s[2:3], 8
	v_or_b32_e32 v32, v6, v32
	s_delay_alu instid0(VALU_DEP_2)
	v_or_b32_e32 v33, v7, v33
	s_cbranch_scc1 .LBB5_1182
.LBB5_1183:                             ;   in Loop: Header=BB5_1137 Depth=2
	s_wait_xcnt 0x0
	s_cbranch_execz .LBB5_1185
	s_branch .LBB5_1186
.LBB5_1184:                             ;   in Loop: Header=BB5_1137 Depth=2
	s_wait_xcnt 0x0
.LBB5_1185:                             ;   in Loop: Header=BB5_1137 Depth=2
	global_load_b64 v[32:33], v1, s[52:53]
.LBB5_1186:                             ;   in Loop: Header=BB5_1137 Depth=2
	v_readfirstlane_b32 s2, v56
	v_mov_b64_e32 v[6:7], 0
	s_delay_alu instid0(VALU_DEP_2)
	v_cmp_eq_u32_e64 s2, s2, v56
	s_wait_xcnt 0x0
	s_and_saveexec_b32 s3, s2
	s_cbranch_execz .LBB5_1192
; %bb.1187:                             ;   in Loop: Header=BB5_1137 Depth=2
	global_load_b64 v[36:37], v1, s[34:35] offset:24 scope:SCOPE_SYS
	s_wait_loadcnt 0x0
	global_inv scope:SCOPE_SYS
	s_clause 0x1
	global_load_b64 v[6:7], v1, s[34:35] offset:40
	global_load_b64 v[34:35], v1, s[34:35]
	s_mov_b32 s52, exec_lo
	s_wait_loadcnt 0x1
	v_and_b32_e32 v6, v6, v36
	v_and_b32_e32 v7, v7, v37
	s_delay_alu instid0(VALU_DEP_1) | instskip(SKIP_1) | instid1(VALU_DEP_1)
	v_mul_u64_e32 v[6:7], 24, v[6:7]
	s_wait_loadcnt 0x0
	v_add_nc_u64_e32 v[6:7], v[34:35], v[6:7]
	global_load_b64 v[34:35], v[6:7], off scope:SCOPE_SYS
	s_wait_xcnt 0x0
	s_wait_loadcnt 0x0
	global_atomic_cmpswap_b64 v[6:7], v1, v[34:37], s[34:35] offset:24 th:TH_ATOMIC_RETURN scope:SCOPE_SYS
	s_wait_loadcnt 0x0
	global_inv scope:SCOPE_SYS
	s_wait_xcnt 0x0
	v_cmpx_ne_u64_e64 v[6:7], v[36:37]
	s_cbranch_execz .LBB5_1191
; %bb.1188:                             ;   in Loop: Header=BB5_1137 Depth=2
	s_mov_b32 s53, 0
.LBB5_1189:                             ;   Parent Loop BB5_270 Depth=1
                                        ;     Parent Loop BB5_1137 Depth=2
                                        ; =>    This Inner Loop Header: Depth=3
	s_sleep 1
	s_clause 0x1
	global_load_b64 v[34:35], v1, s[34:35] offset:40
	global_load_b64 v[38:39], v1, s[34:35]
	v_mov_b64_e32 v[36:37], v[6:7]
	s_wait_loadcnt 0x1
	s_delay_alu instid0(VALU_DEP_1) | instskip(SKIP_1) | instid1(VALU_DEP_1)
	v_and_b32_e32 v0, v34, v36
	s_wait_loadcnt 0x0
	v_mad_nc_u64_u32 v[6:7], v0, 24, v[38:39]
	s_delay_alu instid0(VALU_DEP_3) | instskip(NEXT) | instid1(VALU_DEP_1)
	v_and_b32_e32 v0, v35, v37
	v_mad_u32 v7, v0, 24, v7
	global_load_b64 v[34:35], v[6:7], off scope:SCOPE_SYS
	s_wait_xcnt 0x0
	s_wait_loadcnt 0x0
	global_atomic_cmpswap_b64 v[6:7], v1, v[34:37], s[34:35] offset:24 th:TH_ATOMIC_RETURN scope:SCOPE_SYS
	s_wait_loadcnt 0x0
	global_inv scope:SCOPE_SYS
	v_cmp_eq_u64_e32 vcc_lo, v[6:7], v[36:37]
	s_or_b32 s53, vcc_lo, s53
	s_wait_xcnt 0x0
	s_and_not1_b32 exec_lo, exec_lo, s53
	s_cbranch_execnz .LBB5_1189
; %bb.1190:                             ;   in Loop: Header=BB5_1137 Depth=2
	s_or_b32 exec_lo, exec_lo, s53
.LBB5_1191:                             ;   in Loop: Header=BB5_1137 Depth=2
	s_delay_alu instid0(SALU_CYCLE_1)
	s_or_b32 exec_lo, exec_lo, s52
.LBB5_1192:                             ;   in Loop: Header=BB5_1137 Depth=2
	s_delay_alu instid0(SALU_CYCLE_1)
	s_or_b32 exec_lo, exec_lo, s3
	s_clause 0x1
	global_load_b64 v[38:39], v1, s[34:35] offset:40
	global_load_b128 v[34:37], v1, s[34:35]
	v_readfirstlane_b32 s52, v6
	v_readfirstlane_b32 s53, v7
	s_mov_b32 s3, exec_lo
	s_wait_loadcnt 0x1
	v_and_b32_e32 v38, s52, v38
	v_and_b32_e32 v39, s53, v39
	s_delay_alu instid0(VALU_DEP_1) | instskip(SKIP_1) | instid1(VALU_DEP_1)
	v_mul_u64_e32 v[6:7], 24, v[38:39]
	s_wait_loadcnt 0x0
	v_add_nc_u64_e32 v[6:7], v[34:35], v[6:7]
	s_wait_xcnt 0x0
	s_and_saveexec_b32 s54, s2
	s_cbranch_execz .LBB5_1194
; %bb.1193:                             ;   in Loop: Header=BB5_1137 Depth=2
	v_mov_b32_e32 v0, s3
	global_store_b128 v[6:7], v[0:3], off offset:8
.LBB5_1194:                             ;   in Loop: Header=BB5_1137 Depth=2
	s_wait_xcnt 0x0
	s_or_b32 exec_lo, exec_lo, s54
	v_cmp_gt_u64_e64 s3, s[46:47], 56
	v_lshlrev_b64_e32 v[38:39], 12, v[38:39]
	v_and_b32_e32 v0, 0xffffff1f, v18
	s_and_b32 s3, s3, exec_lo
	s_delay_alu instid0(VALU_DEP_2) | instskip(SKIP_4) | instid1(VALU_DEP_2)
	v_add_nc_u64_e32 v[36:37], v[36:37], v[38:39]
	s_cselect_b32 s3, 0, 2
	s_lshl_b32 s54, s50, 2
	v_or_b32_e32 v0, s3, v0
	s_add_co_i32 s3, s54, 28
	v_readfirstlane_b32 s54, v36
	s_delay_alu instid0(VALU_DEP_3) | instskip(NEXT) | instid1(VALU_DEP_3)
	v_readfirstlane_b32 s55, v37
	v_and_or_b32 v18, 0x1e0, s3, v0
	s_clause 0x3
	global_store_b128 v42, v[18:21], s[54:55]
	global_store_b128 v42, v[22:25], s[54:55] offset:16
	global_store_b128 v42, v[26:29], s[54:55] offset:32
	;; [unrolled: 1-line block ×3, first 2 shown]
	s_wait_xcnt 0x0
	s_and_saveexec_b32 s3, s2
	s_cbranch_execz .LBB5_1202
; %bb.1195:                             ;   in Loop: Header=BB5_1137 Depth=2
	s_clause 0x1
	global_load_b64 v[26:27], v1, s[34:35] offset:32 scope:SCOPE_SYS
	global_load_b64 v[18:19], v1, s[34:35] offset:40
	s_mov_b32 s54, exec_lo
	v_dual_mov_b32 v24, s52 :: v_dual_mov_b32 v25, s53
	s_wait_loadcnt 0x0
	v_and_b32_e32 v19, s53, v19
	v_and_b32_e32 v18, s52, v18
	s_delay_alu instid0(VALU_DEP_1) | instskip(NEXT) | instid1(VALU_DEP_1)
	v_mul_u64_e32 v[18:19], 24, v[18:19]
	v_add_nc_u64_e32 v[22:23], v[34:35], v[18:19]
	global_store_b64 v[22:23], v[26:27], off
	global_wb scope:SCOPE_SYS
	s_wait_storecnt 0x0
	s_wait_xcnt 0x0
	global_atomic_cmpswap_b64 v[20:21], v1, v[24:27], s[34:35] offset:32 th:TH_ATOMIC_RETURN scope:SCOPE_SYS
	s_wait_loadcnt 0x0
	v_cmpx_ne_u64_e64 v[20:21], v[26:27]
	s_cbranch_execz .LBB5_1198
; %bb.1196:                             ;   in Loop: Header=BB5_1137 Depth=2
	s_mov_b32 s55, 0
.LBB5_1197:                             ;   Parent Loop BB5_270 Depth=1
                                        ;     Parent Loop BB5_1137 Depth=2
                                        ; =>    This Inner Loop Header: Depth=3
	v_dual_mov_b32 v18, s52 :: v_dual_mov_b32 v19, s53
	s_sleep 1
	global_store_b64 v[22:23], v[20:21], off
	global_wb scope:SCOPE_SYS
	s_wait_storecnt 0x0
	s_wait_xcnt 0x0
	global_atomic_cmpswap_b64 v[18:19], v1, v[18:21], s[34:35] offset:32 th:TH_ATOMIC_RETURN scope:SCOPE_SYS
	s_wait_loadcnt 0x0
	v_cmp_eq_u64_e32 vcc_lo, v[18:19], v[20:21]
	v_mov_b64_e32 v[20:21], v[18:19]
	s_or_b32 s55, vcc_lo, s55
	s_delay_alu instid0(SALU_CYCLE_1)
	s_and_not1_b32 exec_lo, exec_lo, s55
	s_cbranch_execnz .LBB5_1197
.LBB5_1198:                             ;   in Loop: Header=BB5_1137 Depth=2
	s_or_b32 exec_lo, exec_lo, s54
	global_load_b64 v[18:19], v1, s[34:35] offset:16
	s_mov_b32 s55, exec_lo
	s_mov_b32 s54, exec_lo
	v_mbcnt_lo_u32_b32 v0, s55, 0
	s_wait_xcnt 0x0
	s_delay_alu instid0(VALU_DEP_1)
	v_cmpx_eq_u32_e32 0, v0
	s_cbranch_execz .LBB5_1200
; %bb.1199:                             ;   in Loop: Header=BB5_1137 Depth=2
	s_bcnt1_i32_b32 s55, s55
	s_delay_alu instid0(SALU_CYCLE_1)
	v_mov_b32_e32 v0, s55
	global_wb scope:SCOPE_SYS
	s_wait_loadcnt 0x0
	s_wait_storecnt 0x0
	global_atomic_add_u64 v[18:19], v[0:1], off offset:8 scope:SCOPE_SYS
.LBB5_1200:                             ;   in Loop: Header=BB5_1137 Depth=2
	s_wait_xcnt 0x0
	s_or_b32 exec_lo, exec_lo, s54
	s_wait_loadcnt 0x0
	global_load_b64 v[20:21], v[18:19], off offset:16
	s_wait_loadcnt 0x0
	v_cmp_eq_u64_e32 vcc_lo, 0, v[20:21]
	s_cbranch_vccnz .LBB5_1202
; %bb.1201:                             ;   in Loop: Header=BB5_1137 Depth=2
	global_load_b32 v0, v[18:19], off offset:24
	s_wait_loadcnt 0x0
	v_readfirstlane_b32 s54, v0
	global_wb scope:SCOPE_SYS
	s_wait_storecnt 0x0
	s_wait_xcnt 0x0
	global_store_b64 v[20:21], v[0:1], off scope:SCOPE_SYS
	s_and_b32 m0, s54, 0xffffff
	s_sendmsg sendmsg(MSG_INTERRUPT)
.LBB5_1202:                             ;   in Loop: Header=BB5_1137 Depth=2
	s_wait_xcnt 0x0
	s_or_b32 exec_lo, exec_lo, s3
	v_mov_b32_e32 v43, v1
	s_delay_alu instid0(VALU_DEP_1)
	v_add_nc_u64_e32 v[18:19], v[36:37], v[42:43]
	s_branch .LBB5_1206
.LBB5_1203:                             ;   in Loop: Header=BB5_1206 Depth=3
	s_wait_xcnt 0x0
	s_or_b32 exec_lo, exec_lo, s3
	s_delay_alu instid0(VALU_DEP_1)
	v_readfirstlane_b32 s3, v0
	s_cmp_eq_u32 s3, 0
	s_cbranch_scc1 .LBB5_1205
; %bb.1204:                             ;   in Loop: Header=BB5_1206 Depth=3
	s_sleep 1
	s_cbranch_execnz .LBB5_1206
	s_branch .LBB5_1208
.LBB5_1205:                             ;   in Loop: Header=BB5_1137 Depth=2
	s_branch .LBB5_1208
.LBB5_1206:                             ;   Parent Loop BB5_270 Depth=1
                                        ;     Parent Loop BB5_1137 Depth=2
                                        ; =>    This Inner Loop Header: Depth=3
	v_mov_b32_e32 v0, 1
	s_and_saveexec_b32 s3, s2
	s_cbranch_execz .LBB5_1203
; %bb.1207:                             ;   in Loop: Header=BB5_1206 Depth=3
	global_load_b32 v0, v[6:7], off offset:20 scope:SCOPE_SYS
	s_wait_loadcnt 0x0
	global_inv scope:SCOPE_SYS
	v_and_b32_e32 v0, 1, v0
	s_branch .LBB5_1203
.LBB5_1208:                             ;   in Loop: Header=BB5_1137 Depth=2
	global_load_b128 v[18:21], v[18:19], off
	s_wait_xcnt 0x0
	s_and_saveexec_b32 s54, s2
	s_cbranch_execz .LBB5_1136
; %bb.1209:                             ;   in Loop: Header=BB5_1137 Depth=2
	s_clause 0x1
	global_load_b64 v[6:7], v1, s[34:35] offset:40
	global_load_b64 v[24:25], v1, s[34:35] offset:24 scope:SCOPE_SYS
	s_wait_loadcnt 0x2
	global_load_b64 v[20:21], v1, s[34:35]
	s_wait_loadcnt 0x2
	v_readfirstlane_b32 s60, v6
	v_readfirstlane_b32 s61, v7
	s_add_nc_u64 s[2:3], s[60:61], 1
	s_delay_alu instid0(SALU_CYCLE_1) | instskip(NEXT) | instid1(SALU_CYCLE_1)
	s_add_nc_u64 s[52:53], s[2:3], s[52:53]
	s_cmp_eq_u64 s[52:53], 0
	s_cselect_b32 s3, s3, s53
	s_cselect_b32 s2, s2, s52
	s_delay_alu instid0(SALU_CYCLE_1) | instskip(SKIP_1) | instid1(SALU_CYCLE_1)
	v_dual_mov_b32 v23, s3 :: v_dual_mov_b32 v22, s2
	s_and_b64 s[52:53], s[2:3], s[60:61]
	s_mul_u64 s[52:53], s[52:53], 24
	s_wait_loadcnt 0x0
	v_add_nc_u64_e32 v[6:7], s[52:53], v[20:21]
	global_store_b64 v[6:7], v[24:25], off
	global_wb scope:SCOPE_SYS
	s_wait_storecnt 0x0
	s_wait_xcnt 0x0
	global_atomic_cmpswap_b64 v[22:23], v1, v[22:25], s[34:35] offset:24 th:TH_ATOMIC_RETURN scope:SCOPE_SYS
	s_wait_loadcnt 0x0
	v_cmp_ne_u64_e32 vcc_lo, v[22:23], v[24:25]
	s_and_b32 exec_lo, exec_lo, vcc_lo
	s_cbranch_execz .LBB5_1136
; %bb.1210:                             ;   in Loop: Header=BB5_1137 Depth=2
	s_mov_b32 s52, 0
.LBB5_1211:                             ;   Parent Loop BB5_270 Depth=1
                                        ;     Parent Loop BB5_1137 Depth=2
                                        ; =>    This Inner Loop Header: Depth=3
	v_dual_mov_b32 v20, s2 :: v_dual_mov_b32 v21, s3
	s_sleep 1
	global_store_b64 v[6:7], v[22:23], off
	global_wb scope:SCOPE_SYS
	s_wait_storecnt 0x0
	s_wait_xcnt 0x0
	global_atomic_cmpswap_b64 v[20:21], v1, v[20:23], s[34:35] offset:24 th:TH_ATOMIC_RETURN scope:SCOPE_SYS
	s_wait_loadcnt 0x0
	v_cmp_eq_u64_e32 vcc_lo, v[20:21], v[22:23]
	v_mov_b64_e32 v[22:23], v[20:21]
	s_or_b32 s52, vcc_lo, s52
	s_delay_alu instid0(SALU_CYCLE_1)
	s_and_not1_b32 exec_lo, exec_lo, s52
	s_cbranch_execnz .LBB5_1211
	s_branch .LBB5_1136
.LBB5_1212:                             ;   in Loop: Header=BB5_270 Depth=1
	s_branch .LBB5_1241
.LBB5_1213:                             ;   in Loop: Header=BB5_270 Depth=1
	s_cbranch_execz .LBB5_1241
; %bb.1214:                             ;   in Loop: Header=BB5_270 Depth=1
	v_readfirstlane_b32 s2, v56
	v_mov_b64_e32 v[6:7], 0
	s_delay_alu instid0(VALU_DEP_2)
	v_cmp_eq_u32_e64 s2, s2, v56
	s_and_saveexec_b32 s3, s2
	s_cbranch_execz .LBB5_1220
; %bb.1215:                             ;   in Loop: Header=BB5_270 Depth=1
	s_wait_loadcnt 0x0
	global_load_b64 v[20:21], v1, s[34:35] offset:24 scope:SCOPE_SYS
	s_wait_loadcnt 0x0
	global_inv scope:SCOPE_SYS
	s_clause 0x1
	global_load_b64 v[6:7], v1, s[34:35] offset:40
	global_load_b64 v[18:19], v1, s[34:35]
	s_mov_b32 s46, exec_lo
	s_wait_loadcnt 0x1
	v_and_b32_e32 v6, v6, v20
	v_and_b32_e32 v7, v7, v21
	s_delay_alu instid0(VALU_DEP_1) | instskip(SKIP_1) | instid1(VALU_DEP_1)
	v_mul_u64_e32 v[6:7], 24, v[6:7]
	s_wait_loadcnt 0x0
	v_add_nc_u64_e32 v[6:7], v[18:19], v[6:7]
	global_load_b64 v[18:19], v[6:7], off scope:SCOPE_SYS
	s_wait_xcnt 0x0
	s_wait_loadcnt 0x0
	global_atomic_cmpswap_b64 v[6:7], v1, v[18:21], s[34:35] offset:24 th:TH_ATOMIC_RETURN scope:SCOPE_SYS
	s_wait_loadcnt 0x0
	global_inv scope:SCOPE_SYS
	s_wait_xcnt 0x0
	v_cmpx_ne_u64_e64 v[6:7], v[20:21]
	s_cbranch_execz .LBB5_1219
; %bb.1216:                             ;   in Loop: Header=BB5_270 Depth=1
	s_mov_b32 s47, 0
.LBB5_1217:                             ;   Parent Loop BB5_270 Depth=1
                                        ; =>  This Inner Loop Header: Depth=2
	s_sleep 1
	s_clause 0x1
	global_load_b64 v[18:19], v1, s[34:35] offset:40
	global_load_b64 v[22:23], v1, s[34:35]
	v_mov_b64_e32 v[20:21], v[6:7]
	s_wait_loadcnt 0x1
	s_delay_alu instid0(VALU_DEP_1) | instskip(SKIP_1) | instid1(VALU_DEP_1)
	v_and_b32_e32 v0, v18, v20
	s_wait_loadcnt 0x0
	v_mad_nc_u64_u32 v[6:7], v0, 24, v[22:23]
	s_delay_alu instid0(VALU_DEP_3) | instskip(NEXT) | instid1(VALU_DEP_1)
	v_and_b32_e32 v0, v19, v21
	v_mad_u32 v7, v0, 24, v7
	global_load_b64 v[18:19], v[6:7], off scope:SCOPE_SYS
	s_wait_xcnt 0x0
	s_wait_loadcnt 0x0
	global_atomic_cmpswap_b64 v[6:7], v1, v[18:21], s[34:35] offset:24 th:TH_ATOMIC_RETURN scope:SCOPE_SYS
	s_wait_loadcnt 0x0
	global_inv scope:SCOPE_SYS
	v_cmp_eq_u64_e32 vcc_lo, v[6:7], v[20:21]
	s_or_b32 s47, vcc_lo, s47
	s_wait_xcnt 0x0
	s_and_not1_b32 exec_lo, exec_lo, s47
	s_cbranch_execnz .LBB5_1217
; %bb.1218:                             ;   in Loop: Header=BB5_270 Depth=1
	s_or_b32 exec_lo, exec_lo, s47
.LBB5_1219:                             ;   in Loop: Header=BB5_270 Depth=1
	s_delay_alu instid0(SALU_CYCLE_1)
	s_or_b32 exec_lo, exec_lo, s46
.LBB5_1220:                             ;   in Loop: Header=BB5_270 Depth=1
	s_delay_alu instid0(SALU_CYCLE_1)
	s_or_b32 exec_lo, exec_lo, s3
	s_wait_loadcnt 0x0
	s_clause 0x1
	global_load_b64 v[18:19], v1, s[34:35] offset:40
	global_load_b128 v[20:23], v1, s[34:35]
	v_readfirstlane_b32 s46, v6
	v_readfirstlane_b32 s47, v7
	s_mov_b32 s3, exec_lo
	s_wait_loadcnt 0x1
	v_and_b32_e32 v18, s46, v18
	v_and_b32_e32 v19, s47, v19
	s_delay_alu instid0(VALU_DEP_1) | instskip(SKIP_1) | instid1(VALU_DEP_1)
	v_mul_u64_e32 v[6:7], 24, v[18:19]
	s_wait_loadcnt 0x0
	v_add_nc_u64_e32 v[6:7], v[20:21], v[6:7]
	s_wait_xcnt 0x0
	s_and_saveexec_b32 s48, s2
	s_cbranch_execz .LBB5_1222
; %bb.1221:                             ;   in Loop: Header=BB5_270 Depth=1
	v_mov_b32_e32 v0, s3
	global_store_b128 v[6:7], v[0:3], off offset:8
.LBB5_1222:                             ;   in Loop: Header=BB5_270 Depth=1
	s_wait_xcnt 0x0
	s_or_b32 exec_lo, exec_lo, s48
	v_lshlrev_b64_e32 v[18:19], 12, v[18:19]
	v_and_or_b32 v16, 0xffffff1d, v16, 34
	s_delay_alu instid0(VALU_DEP_2) | instskip(SKIP_1) | instid1(VALU_DEP_2)
	v_add_nc_u64_e32 v[22:23], v[22:23], v[18:19]
	v_dual_mov_b32 v18, v1 :: v_dual_mov_b32 v19, v1
	v_readfirstlane_b32 s48, v22
	s_delay_alu instid0(VALU_DEP_3)
	v_readfirstlane_b32 s49, v23
	v_mov_b64_e32 v[24:25], s[6:7]
	v_mov_b64_e32 v[22:23], s[4:5]
	s_clause 0x3
	global_store_b128 v42, v[16:19], s[48:49]
	global_store_b128 v42, v[22:25], s[48:49] offset:16
	global_store_b128 v42, v[22:25], s[48:49] offset:32
	;; [unrolled: 1-line block ×3, first 2 shown]
	s_wait_xcnt 0x0
	s_and_saveexec_b32 s3, s2
	s_cbranch_execz .LBB5_1230
; %bb.1223:                             ;   in Loop: Header=BB5_270 Depth=1
	s_clause 0x1
	global_load_b64 v[24:25], v1, s[34:35] offset:32 scope:SCOPE_SYS
	global_load_b64 v[16:17], v1, s[34:35] offset:40
	s_mov_b32 s48, exec_lo
	v_dual_mov_b32 v22, s46 :: v_dual_mov_b32 v23, s47
	s_wait_loadcnt 0x0
	v_and_b32_e32 v17, s47, v17
	v_and_b32_e32 v16, s46, v16
	s_delay_alu instid0(VALU_DEP_1) | instskip(NEXT) | instid1(VALU_DEP_1)
	v_mul_u64_e32 v[16:17], 24, v[16:17]
	v_add_nc_u64_e32 v[20:21], v[20:21], v[16:17]
	global_store_b64 v[20:21], v[24:25], off
	global_wb scope:SCOPE_SYS
	s_wait_storecnt 0x0
	s_wait_xcnt 0x0
	global_atomic_cmpswap_b64 v[18:19], v1, v[22:25], s[34:35] offset:32 th:TH_ATOMIC_RETURN scope:SCOPE_SYS
	s_wait_loadcnt 0x0
	v_cmpx_ne_u64_e64 v[18:19], v[24:25]
	s_cbranch_execz .LBB5_1226
; %bb.1224:                             ;   in Loop: Header=BB5_270 Depth=1
	s_mov_b32 s49, 0
.LBB5_1225:                             ;   Parent Loop BB5_270 Depth=1
                                        ; =>  This Inner Loop Header: Depth=2
	v_dual_mov_b32 v16, s46 :: v_dual_mov_b32 v17, s47
	s_sleep 1
	global_store_b64 v[20:21], v[18:19], off
	global_wb scope:SCOPE_SYS
	s_wait_storecnt 0x0
	s_wait_xcnt 0x0
	global_atomic_cmpswap_b64 v[16:17], v1, v[16:19], s[34:35] offset:32 th:TH_ATOMIC_RETURN scope:SCOPE_SYS
	s_wait_loadcnt 0x0
	v_cmp_eq_u64_e32 vcc_lo, v[16:17], v[18:19]
	v_mov_b64_e32 v[18:19], v[16:17]
	s_or_b32 s49, vcc_lo, s49
	s_delay_alu instid0(SALU_CYCLE_1)
	s_and_not1_b32 exec_lo, exec_lo, s49
	s_cbranch_execnz .LBB5_1225
.LBB5_1226:                             ;   in Loop: Header=BB5_270 Depth=1
	s_or_b32 exec_lo, exec_lo, s48
	global_load_b64 v[16:17], v1, s[34:35] offset:16
	s_mov_b32 s49, exec_lo
	s_mov_b32 s48, exec_lo
	v_mbcnt_lo_u32_b32 v0, s49, 0
	s_wait_xcnt 0x0
	s_delay_alu instid0(VALU_DEP_1)
	v_cmpx_eq_u32_e32 0, v0
	s_cbranch_execz .LBB5_1228
; %bb.1227:                             ;   in Loop: Header=BB5_270 Depth=1
	s_bcnt1_i32_b32 s49, s49
	s_delay_alu instid0(SALU_CYCLE_1)
	v_mov_b32_e32 v0, s49
	global_wb scope:SCOPE_SYS
	s_wait_loadcnt 0x0
	s_wait_storecnt 0x0
	global_atomic_add_u64 v[16:17], v[0:1], off offset:8 scope:SCOPE_SYS
.LBB5_1228:                             ;   in Loop: Header=BB5_270 Depth=1
	s_wait_xcnt 0x0
	s_or_b32 exec_lo, exec_lo, s48
	s_wait_loadcnt 0x0
	global_load_b64 v[18:19], v[16:17], off offset:16
	s_wait_loadcnt 0x0
	v_cmp_eq_u64_e32 vcc_lo, 0, v[18:19]
	s_cbranch_vccnz .LBB5_1230
; %bb.1229:                             ;   in Loop: Header=BB5_270 Depth=1
	global_load_b32 v0, v[16:17], off offset:24
	s_wait_loadcnt 0x0
	v_readfirstlane_b32 s48, v0
	global_wb scope:SCOPE_SYS
	s_wait_storecnt 0x0
	s_wait_xcnt 0x0
	global_store_b64 v[18:19], v[0:1], off scope:SCOPE_SYS
	s_and_b32 m0, s48, 0xffffff
	s_sendmsg sendmsg(MSG_INTERRUPT)
.LBB5_1230:                             ;   in Loop: Header=BB5_270 Depth=1
	s_wait_xcnt 0x0
	s_or_b32 exec_lo, exec_lo, s3
	s_branch .LBB5_1234
.LBB5_1231:                             ;   in Loop: Header=BB5_1234 Depth=2
	s_wait_xcnt 0x0
	s_or_b32 exec_lo, exec_lo, s3
	s_delay_alu instid0(VALU_DEP_1)
	v_readfirstlane_b32 s3, v0
	s_cmp_eq_u32 s3, 0
	s_cbranch_scc1 .LBB5_1233
; %bb.1232:                             ;   in Loop: Header=BB5_1234 Depth=2
	s_sleep 1
	s_cbranch_execnz .LBB5_1234
	s_branch .LBB5_1236
.LBB5_1233:                             ;   in Loop: Header=BB5_270 Depth=1
	s_branch .LBB5_1236
.LBB5_1234:                             ;   Parent Loop BB5_270 Depth=1
                                        ; =>  This Inner Loop Header: Depth=2
	v_mov_b32_e32 v0, 1
	s_and_saveexec_b32 s3, s2
	s_cbranch_execz .LBB5_1231
; %bb.1235:                             ;   in Loop: Header=BB5_1234 Depth=2
	global_load_b32 v0, v[6:7], off offset:20 scope:SCOPE_SYS
	s_wait_loadcnt 0x0
	global_inv scope:SCOPE_SYS
	v_and_b32_e32 v0, 1, v0
	s_branch .LBB5_1231
.LBB5_1236:                             ;   in Loop: Header=BB5_270 Depth=1
	s_and_saveexec_b32 s48, s2
	s_cbranch_execz .LBB5_1240
; %bb.1237:                             ;   in Loop: Header=BB5_270 Depth=1
	s_clause 0x2
	global_load_b64 v[6:7], v1, s[34:35] offset:40
	global_load_b64 v[20:21], v1, s[34:35] offset:24 scope:SCOPE_SYS
	global_load_b64 v[16:17], v1, s[34:35]
	s_wait_loadcnt 0x2
	v_readfirstlane_b32 s50, v6
	v_readfirstlane_b32 s51, v7
	s_add_nc_u64 s[2:3], s[50:51], 1
	s_delay_alu instid0(SALU_CYCLE_1) | instskip(NEXT) | instid1(SALU_CYCLE_1)
	s_add_nc_u64 s[46:47], s[2:3], s[46:47]
	s_cmp_eq_u64 s[46:47], 0
	s_cselect_b32 s3, s3, s47
	s_cselect_b32 s2, s2, s46
	s_delay_alu instid0(SALU_CYCLE_1) | instskip(SKIP_1) | instid1(SALU_CYCLE_1)
	v_dual_mov_b32 v19, s3 :: v_dual_mov_b32 v18, s2
	s_and_b64 s[46:47], s[2:3], s[50:51]
	s_mul_u64 s[46:47], s[46:47], 24
	s_wait_loadcnt 0x0
	v_add_nc_u64_e32 v[6:7], s[46:47], v[16:17]
	global_store_b64 v[6:7], v[20:21], off
	global_wb scope:SCOPE_SYS
	s_wait_storecnt 0x0
	s_wait_xcnt 0x0
	global_atomic_cmpswap_b64 v[18:19], v1, v[18:21], s[34:35] offset:24 th:TH_ATOMIC_RETURN scope:SCOPE_SYS
	s_wait_loadcnt 0x0
	v_cmp_ne_u64_e32 vcc_lo, v[18:19], v[20:21]
	s_and_b32 exec_lo, exec_lo, vcc_lo
	s_cbranch_execz .LBB5_1240
; %bb.1238:                             ;   in Loop: Header=BB5_270 Depth=1
	s_mov_b32 s46, 0
.LBB5_1239:                             ;   Parent Loop BB5_270 Depth=1
                                        ; =>  This Inner Loop Header: Depth=2
	v_dual_mov_b32 v16, s2 :: v_dual_mov_b32 v17, s3
	s_sleep 1
	global_store_b64 v[6:7], v[18:19], off
	global_wb scope:SCOPE_SYS
	s_wait_storecnt 0x0
	s_wait_xcnt 0x0
	global_atomic_cmpswap_b64 v[16:17], v1, v[16:19], s[34:35] offset:24 th:TH_ATOMIC_RETURN scope:SCOPE_SYS
	s_wait_loadcnt 0x0
	v_cmp_eq_u64_e32 vcc_lo, v[16:17], v[18:19]
	v_mov_b64_e32 v[18:19], v[16:17]
	s_or_b32 s46, vcc_lo, s46
	s_delay_alu instid0(SALU_CYCLE_1)
	s_and_not1_b32 exec_lo, exec_lo, s46
	s_cbranch_execnz .LBB5_1239
.LBB5_1240:                             ;   in Loop: Header=BB5_270 Depth=1
	s_or_b32 exec_lo, exec_lo, s48
.LBB5_1241:                             ;   in Loop: Header=BB5_270 Depth=1
	s_add_nc_u64 s[2:3], s[30:31], s[44:45]
	v_mov_b64_e32 v[6:7], 0
	global_load_b32 v46, v1, s[2:3]
	s_wait_xcnt 0x0
	v_readfirstlane_b32 s2, v56
	s_delay_alu instid0(VALU_DEP_1)
	v_cmp_eq_u32_e64 s2, s2, v56
	s_and_saveexec_b32 s3, s2
	s_cbranch_execz .LBB5_1247
; %bb.1242:                             ;   in Loop: Header=BB5_270 Depth=1
	s_wait_loadcnt 0x1
	global_load_b64 v[18:19], v1, s[34:35] offset:24 scope:SCOPE_SYS
	s_wait_loadcnt 0x0
	global_inv scope:SCOPE_SYS
	s_clause 0x1
	global_load_b64 v[6:7], v1, s[34:35] offset:40
	global_load_b64 v[16:17], v1, s[34:35]
	s_mov_b32 s44, exec_lo
	s_wait_loadcnt 0x1
	v_and_b32_e32 v6, v6, v18
	v_and_b32_e32 v7, v7, v19
	s_delay_alu instid0(VALU_DEP_1) | instskip(SKIP_1) | instid1(VALU_DEP_1)
	v_mul_u64_e32 v[6:7], 24, v[6:7]
	s_wait_loadcnt 0x0
	v_add_nc_u64_e32 v[6:7], v[16:17], v[6:7]
	global_load_b64 v[16:17], v[6:7], off scope:SCOPE_SYS
	s_wait_xcnt 0x0
	s_wait_loadcnt 0x0
	global_atomic_cmpswap_b64 v[6:7], v1, v[16:19], s[34:35] offset:24 th:TH_ATOMIC_RETURN scope:SCOPE_SYS
	s_wait_loadcnt 0x0
	global_inv scope:SCOPE_SYS
	s_wait_xcnt 0x0
	v_cmpx_ne_u64_e64 v[6:7], v[18:19]
	s_cbranch_execz .LBB5_1246
; %bb.1243:                             ;   in Loop: Header=BB5_270 Depth=1
	s_mov_b32 s45, 0
.LBB5_1244:                             ;   Parent Loop BB5_270 Depth=1
                                        ; =>  This Inner Loop Header: Depth=2
	s_sleep 1
	s_clause 0x1
	global_load_b64 v[16:17], v1, s[34:35] offset:40
	global_load_b64 v[20:21], v1, s[34:35]
	v_mov_b64_e32 v[18:19], v[6:7]
	s_wait_loadcnt 0x1
	s_delay_alu instid0(VALU_DEP_1) | instskip(SKIP_1) | instid1(VALU_DEP_1)
	v_and_b32_e32 v0, v16, v18
	s_wait_loadcnt 0x0
	v_mad_nc_u64_u32 v[6:7], v0, 24, v[20:21]
	s_delay_alu instid0(VALU_DEP_3) | instskip(NEXT) | instid1(VALU_DEP_1)
	v_and_b32_e32 v0, v17, v19
	v_mad_u32 v7, v0, 24, v7
	global_load_b64 v[16:17], v[6:7], off scope:SCOPE_SYS
	s_wait_xcnt 0x0
	s_wait_loadcnt 0x0
	global_atomic_cmpswap_b64 v[6:7], v1, v[16:19], s[34:35] offset:24 th:TH_ATOMIC_RETURN scope:SCOPE_SYS
	s_wait_loadcnt 0x0
	global_inv scope:SCOPE_SYS
	v_cmp_eq_u64_e32 vcc_lo, v[6:7], v[18:19]
	s_or_b32 s45, vcc_lo, s45
	s_wait_xcnt 0x0
	s_and_not1_b32 exec_lo, exec_lo, s45
	s_cbranch_execnz .LBB5_1244
; %bb.1245:                             ;   in Loop: Header=BB5_270 Depth=1
	s_or_b32 exec_lo, exec_lo, s45
.LBB5_1246:                             ;   in Loop: Header=BB5_270 Depth=1
	s_delay_alu instid0(SALU_CYCLE_1)
	s_or_b32 exec_lo, exec_lo, s44
.LBB5_1247:                             ;   in Loop: Header=BB5_270 Depth=1
	s_delay_alu instid0(SALU_CYCLE_1)
	s_or_b32 exec_lo, exec_lo, s3
	s_wait_loadcnt 0x1
	s_clause 0x1
	global_load_b64 v[20:21], v1, s[34:35] offset:40
	global_load_b128 v[16:19], v1, s[34:35]
	v_readfirstlane_b32 s44, v6
	v_readfirstlane_b32 s45, v7
	s_mov_b32 s3, exec_lo
	s_wait_loadcnt 0x1
	v_and_b32_e32 v6, s44, v20
	v_and_b32_e32 v7, s45, v21
	s_delay_alu instid0(VALU_DEP_1) | instskip(SKIP_1) | instid1(VALU_DEP_1)
	v_mul_u64_e32 v[20:21], 24, v[6:7]
	s_wait_loadcnt 0x0
	v_add_nc_u64_e32 v[20:21], v[16:17], v[20:21]
	s_wait_xcnt 0x0
	s_and_saveexec_b32 s46, s2
	s_cbranch_execz .LBB5_1249
; %bb.1248:                             ;   in Loop: Header=BB5_270 Depth=1
	v_mov_b32_e32 v0, s3
	global_store_b128 v[20:21], v[0:3], off offset:8
.LBB5_1249:                             ;   in Loop: Header=BB5_270 Depth=1
	s_wait_xcnt 0x0
	s_or_b32 exec_lo, exec_lo, s46
	v_lshlrev_b64_e32 v[6:7], 12, v[6:7]
	v_mov_b64_e32 v[26:27], s[6:7]
	v_mov_b64_e32 v[24:25], s[4:5]
	v_mov_b32_e32 v5, v1
	s_delay_alu instid0(VALU_DEP_4) | instskip(SKIP_1) | instid1(VALU_DEP_2)
	v_add_nc_u64_e32 v[22:23], v[18:19], v[6:7]
	v_dual_mov_b32 v6, v1 :: v_dual_mov_b32 v7, v1
	v_readfirstlane_b32 s46, v22
	s_delay_alu instid0(VALU_DEP_3)
	v_readfirstlane_b32 s47, v23
	s_clause 0x3
	global_store_b128 v42, v[4:7], s[46:47]
	global_store_b128 v42, v[24:27], s[46:47] offset:16
	global_store_b128 v42, v[24:27], s[46:47] offset:32
	;; [unrolled: 1-line block ×3, first 2 shown]
	s_wait_xcnt 0x0
	s_and_saveexec_b32 s3, s2
	s_cbranch_execz .LBB5_1257
; %bb.1250:                             ;   in Loop: Header=BB5_270 Depth=1
	s_clause 0x1
	global_load_b64 v[26:27], v1, s[34:35] offset:32 scope:SCOPE_SYS
	global_load_b64 v[6:7], v1, s[34:35] offset:40
	s_mov_b32 s46, exec_lo
	v_dual_mov_b32 v24, s44 :: v_dual_mov_b32 v25, s45
	s_wait_loadcnt 0x0
	v_and_b32_e32 v7, s45, v7
	v_and_b32_e32 v6, s44, v6
	s_delay_alu instid0(VALU_DEP_1) | instskip(NEXT) | instid1(VALU_DEP_1)
	v_mul_u64_e32 v[6:7], 24, v[6:7]
	v_add_nc_u64_e32 v[6:7], v[16:17], v[6:7]
	global_store_b64 v[6:7], v[26:27], off
	global_wb scope:SCOPE_SYS
	s_wait_storecnt 0x0
	s_wait_xcnt 0x0
	global_atomic_cmpswap_b64 v[18:19], v1, v[24:27], s[34:35] offset:32 th:TH_ATOMIC_RETURN scope:SCOPE_SYS
	s_wait_loadcnt 0x0
	v_cmpx_ne_u64_e64 v[18:19], v[26:27]
	s_cbranch_execz .LBB5_1253
; %bb.1251:                             ;   in Loop: Header=BB5_270 Depth=1
	s_mov_b32 s47, 0
.LBB5_1252:                             ;   Parent Loop BB5_270 Depth=1
                                        ; =>  This Inner Loop Header: Depth=2
	v_dual_mov_b32 v16, s44 :: v_dual_mov_b32 v17, s45
	s_sleep 1
	global_store_b64 v[6:7], v[18:19], off
	global_wb scope:SCOPE_SYS
	s_wait_storecnt 0x0
	s_wait_xcnt 0x0
	global_atomic_cmpswap_b64 v[16:17], v1, v[16:19], s[34:35] offset:32 th:TH_ATOMIC_RETURN scope:SCOPE_SYS
	s_wait_loadcnt 0x0
	v_cmp_eq_u64_e32 vcc_lo, v[16:17], v[18:19]
	v_mov_b64_e32 v[18:19], v[16:17]
	s_or_b32 s47, vcc_lo, s47
	s_delay_alu instid0(SALU_CYCLE_1)
	s_and_not1_b32 exec_lo, exec_lo, s47
	s_cbranch_execnz .LBB5_1252
.LBB5_1253:                             ;   in Loop: Header=BB5_270 Depth=1
	s_or_b32 exec_lo, exec_lo, s46
	global_load_b64 v[6:7], v1, s[34:35] offset:16
	s_mov_b32 s47, exec_lo
	s_mov_b32 s46, exec_lo
	v_mbcnt_lo_u32_b32 v0, s47, 0
	s_wait_xcnt 0x0
	s_delay_alu instid0(VALU_DEP_1)
	v_cmpx_eq_u32_e32 0, v0
	s_cbranch_execz .LBB5_1255
; %bb.1254:                             ;   in Loop: Header=BB5_270 Depth=1
	s_bcnt1_i32_b32 s47, s47
	s_delay_alu instid0(SALU_CYCLE_1)
	v_mov_b32_e32 v0, s47
	global_wb scope:SCOPE_SYS
	s_wait_loadcnt 0x0
	s_wait_storecnt 0x0
	global_atomic_add_u64 v[6:7], v[0:1], off offset:8 scope:SCOPE_SYS
.LBB5_1255:                             ;   in Loop: Header=BB5_270 Depth=1
	s_wait_xcnt 0x0
	s_or_b32 exec_lo, exec_lo, s46
	s_wait_loadcnt 0x0
	global_load_b64 v[16:17], v[6:7], off offset:16
	s_wait_loadcnt 0x0
	v_cmp_eq_u64_e32 vcc_lo, 0, v[16:17]
	s_cbranch_vccnz .LBB5_1257
; %bb.1256:                             ;   in Loop: Header=BB5_270 Depth=1
	global_load_b32 v0, v[6:7], off offset:24
	s_wait_loadcnt 0x0
	v_readfirstlane_b32 s46, v0
	global_wb scope:SCOPE_SYS
	s_wait_storecnt 0x0
	s_wait_xcnt 0x0
	global_store_b64 v[16:17], v[0:1], off scope:SCOPE_SYS
	s_and_b32 m0, s46, 0xffffff
	s_sendmsg sendmsg(MSG_INTERRUPT)
.LBB5_1257:                             ;   in Loop: Header=BB5_270 Depth=1
	s_wait_xcnt 0x0
	s_or_b32 exec_lo, exec_lo, s3
	v_mov_b32_e32 v43, v1
	s_delay_alu instid0(VALU_DEP_1)
	v_add_nc_u64_e32 v[6:7], v[22:23], v[42:43]
	s_branch .LBB5_1261
.LBB5_1258:                             ;   in Loop: Header=BB5_1261 Depth=2
	s_wait_xcnt 0x0
	s_or_b32 exec_lo, exec_lo, s3
	s_delay_alu instid0(VALU_DEP_1)
	v_readfirstlane_b32 s3, v0
	s_cmp_eq_u32 s3, 0
	s_cbranch_scc1 .LBB5_1260
; %bb.1259:                             ;   in Loop: Header=BB5_1261 Depth=2
	s_sleep 1
	s_cbranch_execnz .LBB5_1261
	s_branch .LBB5_1263
.LBB5_1260:                             ;   in Loop: Header=BB5_270 Depth=1
	s_branch .LBB5_1263
.LBB5_1261:                             ;   Parent Loop BB5_270 Depth=1
                                        ; =>  This Inner Loop Header: Depth=2
	v_mov_b32_e32 v0, 1
	s_and_saveexec_b32 s3, s2
	s_cbranch_execz .LBB5_1258
; %bb.1262:                             ;   in Loop: Header=BB5_1261 Depth=2
	global_load_b32 v0, v[20:21], off offset:20 scope:SCOPE_SYS
	s_wait_loadcnt 0x0
	global_inv scope:SCOPE_SYS
	v_and_b32_e32 v0, 1, v0
	s_branch .LBB5_1258
.LBB5_1263:                             ;   in Loop: Header=BB5_270 Depth=1
	global_load_b64 v[16:17], v[6:7], off
	s_wait_xcnt 0x0
	s_and_saveexec_b32 s46, s2
	s_cbranch_execz .LBB5_1267
; %bb.1264:                             ;   in Loop: Header=BB5_270 Depth=1
	s_clause 0x2
	global_load_b64 v[6:7], v1, s[34:35] offset:40
	global_load_b64 v[22:23], v1, s[34:35] offset:24 scope:SCOPE_SYS
	global_load_b64 v[18:19], v1, s[34:35]
	s_wait_loadcnt 0x2
	v_readfirstlane_b32 s48, v6
	v_readfirstlane_b32 s49, v7
	s_add_nc_u64 s[2:3], s[48:49], 1
	s_delay_alu instid0(SALU_CYCLE_1) | instskip(NEXT) | instid1(SALU_CYCLE_1)
	s_add_nc_u64 s[44:45], s[2:3], s[44:45]
	s_cmp_eq_u64 s[44:45], 0
	s_cselect_b32 s3, s3, s45
	s_cselect_b32 s2, s2, s44
	s_delay_alu instid0(SALU_CYCLE_1) | instskip(SKIP_1) | instid1(SALU_CYCLE_1)
	v_dual_mov_b32 v21, s3 :: v_dual_mov_b32 v20, s2
	s_and_b64 s[44:45], s[2:3], s[48:49]
	s_mul_u64 s[44:45], s[44:45], 24
	s_wait_loadcnt 0x0
	v_add_nc_u64_e32 v[6:7], s[44:45], v[18:19]
	global_store_b64 v[6:7], v[22:23], off
	global_wb scope:SCOPE_SYS
	s_wait_storecnt 0x0
	s_wait_xcnt 0x0
	global_atomic_cmpswap_b64 v[20:21], v1, v[20:23], s[34:35] offset:24 th:TH_ATOMIC_RETURN scope:SCOPE_SYS
	s_wait_loadcnt 0x0
	v_cmp_ne_u64_e32 vcc_lo, v[20:21], v[22:23]
	s_and_b32 exec_lo, exec_lo, vcc_lo
	s_cbranch_execz .LBB5_1267
; %bb.1265:                             ;   in Loop: Header=BB5_270 Depth=1
	s_mov_b32 s44, 0
.LBB5_1266:                             ;   Parent Loop BB5_270 Depth=1
                                        ; =>  This Inner Loop Header: Depth=2
	v_dual_mov_b32 v18, s2 :: v_dual_mov_b32 v19, s3
	s_sleep 1
	global_store_b64 v[6:7], v[20:21], off
	global_wb scope:SCOPE_SYS
	s_wait_storecnt 0x0
	s_wait_xcnt 0x0
	global_atomic_cmpswap_b64 v[18:19], v1, v[18:21], s[34:35] offset:24 th:TH_ATOMIC_RETURN scope:SCOPE_SYS
	s_wait_loadcnt 0x0
	v_cmp_eq_u64_e32 vcc_lo, v[18:19], v[20:21]
	v_mov_b64_e32 v[20:21], v[18:19]
	s_or_b32 s44, vcc_lo, s44
	s_delay_alu instid0(SALU_CYCLE_1)
	s_and_not1_b32 exec_lo, exec_lo, s44
	s_cbranch_execnz .LBB5_1266
.LBB5_1267:                             ;   in Loop: Header=BB5_270 Depth=1
	s_or_b32 exec_lo, exec_lo, s46
	s_delay_alu instid0(SALU_CYCLE_1)
	s_and_b32 vcc_lo, exec_lo, s58
	s_cbranch_vccz .LBB5_1346
; %bb.1268:                             ;   in Loop: Header=BB5_270 Depth=1
	s_wait_loadcnt 0x0
	v_dual_mov_b32 v19, v17 :: v_dual_bitop2_b32 v6, 2, v16 bitop3:0x40
	v_and_b32_e32 v18, -3, v16
	s_mov_b64 s[44:45], 3
	s_mov_b64 s[46:47], s[12:13]
	s_branch .LBB5_1270
.LBB5_1269:                             ;   in Loop: Header=BB5_1270 Depth=2
	s_or_b32 exec_lo, exec_lo, s52
	s_sub_nc_u64 s[44:45], s[44:45], s[48:49]
	s_add_nc_u64 s[46:47], s[46:47], s[48:49]
	s_cmp_lg_u64 s[44:45], 0
	s_cbranch_scc0 .LBB5_1345
.LBB5_1270:                             ;   Parent Loop BB5_270 Depth=1
                                        ; =>  This Loop Header: Depth=2
                                        ;       Child Loop BB5_1273 Depth 3
                                        ;       Child Loop BB5_1280 Depth 3
	;; [unrolled: 1-line block ×11, first 2 shown]
	v_min_u64 v[20:21], s[44:45], 56
	v_cmp_gt_u64_e64 s2, s[44:45], 7
	s_and_b32 vcc_lo, exec_lo, s2
	v_readfirstlane_b32 s48, v20
	v_readfirstlane_b32 s49, v21
	s_cbranch_vccnz .LBB5_1275
; %bb.1271:                             ;   in Loop: Header=BB5_1270 Depth=2
	v_mov_b64_e32 v[20:21], 0
	s_cmp_eq_u64 s[44:45], 0
	s_cbranch_scc1 .LBB5_1274
; %bb.1272:                             ;   in Loop: Header=BB5_1270 Depth=2
	s_mov_b64 s[2:3], 0
	s_mov_b64 s[50:51], 0
.LBB5_1273:                             ;   Parent Loop BB5_270 Depth=1
                                        ;     Parent Loop BB5_1270 Depth=2
                                        ; =>    This Inner Loop Header: Depth=3
	s_wait_xcnt 0x0
	s_add_nc_u64 s[52:53], s[46:47], s[50:51]
	s_add_nc_u64 s[50:51], s[50:51], 1
	global_load_u8 v0, v1, s[52:53]
	s_cmp_lg_u32 s48, s50
	s_wait_loadcnt 0x0
	v_and_b32_e32 v0, 0xffff, v0
	s_delay_alu instid0(VALU_DEP_1) | instskip(SKIP_1) | instid1(VALU_DEP_1)
	v_lshlrev_b64_e32 v[22:23], s2, v[0:1]
	s_add_nc_u64 s[2:3], s[2:3], 8
	v_or_b32_e32 v20, v22, v20
	s_delay_alu instid0(VALU_DEP_2)
	v_or_b32_e32 v21, v23, v21
	s_cbranch_scc1 .LBB5_1273
.LBB5_1274:                             ;   in Loop: Header=BB5_1270 Depth=2
	s_mov_b64 s[2:3], s[46:47]
	s_mov_b32 s54, 0
	s_cbranch_execz .LBB5_1276
	s_branch .LBB5_1277
.LBB5_1275:                             ;   in Loop: Header=BB5_1270 Depth=2
	s_add_nc_u64 s[2:3], s[46:47], 8
	s_mov_b32 s54, 0
.LBB5_1276:                             ;   in Loop: Header=BB5_1270 Depth=2
	global_load_b64 v[20:21], v1, s[46:47]
	s_add_co_i32 s54, s48, -8
.LBB5_1277:                             ;   in Loop: Header=BB5_1270 Depth=2
	s_delay_alu instid0(SALU_CYCLE_1)
	s_cmp_gt_u32 s54, 7
	s_cbranch_scc1 .LBB5_1282
; %bb.1278:                             ;   in Loop: Header=BB5_1270 Depth=2
	v_mov_b64_e32 v[22:23], 0
	s_cmp_eq_u32 s54, 0
	s_cbranch_scc1 .LBB5_1281
; %bb.1279:                             ;   in Loop: Header=BB5_1270 Depth=2
	s_mov_b64 s[50:51], 0
	s_wait_xcnt 0x0
	s_mov_b64 s[52:53], 0
.LBB5_1280:                             ;   Parent Loop BB5_270 Depth=1
                                        ;     Parent Loop BB5_1270 Depth=2
                                        ; =>    This Inner Loop Header: Depth=3
	s_wait_xcnt 0x0
	s_add_nc_u64 s[60:61], s[2:3], s[52:53]
	s_add_nc_u64 s[52:53], s[52:53], 1
	global_load_u8 v0, v1, s[60:61]
	s_cmp_lg_u32 s54, s52
	s_wait_loadcnt 0x0
	v_and_b32_e32 v0, 0xffff, v0
	s_delay_alu instid0(VALU_DEP_1) | instskip(SKIP_1) | instid1(VALU_DEP_1)
	v_lshlrev_b64_e32 v[24:25], s50, v[0:1]
	s_add_nc_u64 s[50:51], s[50:51], 8
	v_or_b32_e32 v22, v24, v22
	s_delay_alu instid0(VALU_DEP_2)
	v_or_b32_e32 v23, v25, v23
	s_cbranch_scc1 .LBB5_1280
.LBB5_1281:                             ;   in Loop: Header=BB5_1270 Depth=2
	s_wait_xcnt 0x0
	s_mov_b64 s[50:51], s[2:3]
	s_mov_b32 s55, 0
	s_cbranch_execz .LBB5_1283
	s_branch .LBB5_1284
.LBB5_1282:                             ;   in Loop: Header=BB5_1270 Depth=2
	s_add_nc_u64 s[50:51], s[2:3], 8
	s_wait_xcnt 0x0
                                        ; implicit-def: $vgpr22_vgpr23
	s_mov_b32 s55, 0
.LBB5_1283:                             ;   in Loop: Header=BB5_1270 Depth=2
	global_load_b64 v[22:23], v1, s[2:3]
	s_add_co_i32 s55, s54, -8
.LBB5_1284:                             ;   in Loop: Header=BB5_1270 Depth=2
	s_delay_alu instid0(SALU_CYCLE_1)
	s_cmp_gt_u32 s55, 7
	s_cbranch_scc1 .LBB5_1289
; %bb.1285:                             ;   in Loop: Header=BB5_1270 Depth=2
	v_mov_b64_e32 v[24:25], 0
	s_cmp_eq_u32 s55, 0
	s_cbranch_scc1 .LBB5_1288
; %bb.1286:                             ;   in Loop: Header=BB5_1270 Depth=2
	s_wait_xcnt 0x0
	s_mov_b64 s[2:3], 0
	s_mov_b64 s[52:53], 0
.LBB5_1287:                             ;   Parent Loop BB5_270 Depth=1
                                        ;     Parent Loop BB5_1270 Depth=2
                                        ; =>    This Inner Loop Header: Depth=3
	s_wait_xcnt 0x0
	s_add_nc_u64 s[60:61], s[50:51], s[52:53]
	s_add_nc_u64 s[52:53], s[52:53], 1
	global_load_u8 v0, v1, s[60:61]
	s_cmp_lg_u32 s55, s52
	s_wait_loadcnt 0x0
	v_and_b32_e32 v0, 0xffff, v0
	s_delay_alu instid0(VALU_DEP_1) | instskip(SKIP_1) | instid1(VALU_DEP_1)
	v_lshlrev_b64_e32 v[26:27], s2, v[0:1]
	s_add_nc_u64 s[2:3], s[2:3], 8
	v_or_b32_e32 v24, v26, v24
	s_delay_alu instid0(VALU_DEP_2)
	v_or_b32_e32 v25, v27, v25
	s_cbranch_scc1 .LBB5_1287
.LBB5_1288:                             ;   in Loop: Header=BB5_1270 Depth=2
	s_wait_xcnt 0x0
	s_mov_b64 s[2:3], s[50:51]
	s_mov_b32 s54, 0
	s_cbranch_execz .LBB5_1290
	s_branch .LBB5_1291
.LBB5_1289:                             ;   in Loop: Header=BB5_1270 Depth=2
	s_wait_xcnt 0x0
	s_add_nc_u64 s[2:3], s[50:51], 8
	s_mov_b32 s54, 0
.LBB5_1290:                             ;   in Loop: Header=BB5_1270 Depth=2
	global_load_b64 v[24:25], v1, s[50:51]
	s_add_co_i32 s54, s55, -8
.LBB5_1291:                             ;   in Loop: Header=BB5_1270 Depth=2
	s_delay_alu instid0(SALU_CYCLE_1)
	s_cmp_gt_u32 s54, 7
	s_cbranch_scc1 .LBB5_1296
; %bb.1292:                             ;   in Loop: Header=BB5_1270 Depth=2
	v_mov_b64_e32 v[26:27], 0
	s_cmp_eq_u32 s54, 0
	s_cbranch_scc1 .LBB5_1295
; %bb.1293:                             ;   in Loop: Header=BB5_1270 Depth=2
	s_wait_xcnt 0x0
	s_mov_b64 s[50:51], 0
	s_mov_b64 s[52:53], 0
.LBB5_1294:                             ;   Parent Loop BB5_270 Depth=1
                                        ;     Parent Loop BB5_1270 Depth=2
                                        ; =>    This Inner Loop Header: Depth=3
	s_wait_xcnt 0x0
	s_add_nc_u64 s[60:61], s[2:3], s[52:53]
	s_add_nc_u64 s[52:53], s[52:53], 1
	global_load_u8 v0, v1, s[60:61]
	s_cmp_lg_u32 s54, s52
	s_wait_loadcnt 0x0
	v_and_b32_e32 v0, 0xffff, v0
	s_delay_alu instid0(VALU_DEP_1) | instskip(SKIP_1) | instid1(VALU_DEP_1)
	v_lshlrev_b64_e32 v[28:29], s50, v[0:1]
	s_add_nc_u64 s[50:51], s[50:51], 8
	v_or_b32_e32 v26, v28, v26
	s_delay_alu instid0(VALU_DEP_2)
	v_or_b32_e32 v27, v29, v27
	s_cbranch_scc1 .LBB5_1294
.LBB5_1295:                             ;   in Loop: Header=BB5_1270 Depth=2
	s_wait_xcnt 0x0
	s_mov_b64 s[50:51], s[2:3]
	s_mov_b32 s55, 0
	s_cbranch_execz .LBB5_1297
	s_branch .LBB5_1298
.LBB5_1296:                             ;   in Loop: Header=BB5_1270 Depth=2
	s_wait_xcnt 0x0
	s_add_nc_u64 s[50:51], s[2:3], 8
                                        ; implicit-def: $vgpr26_vgpr27
	s_mov_b32 s55, 0
.LBB5_1297:                             ;   in Loop: Header=BB5_1270 Depth=2
	global_load_b64 v[26:27], v1, s[2:3]
	s_add_co_i32 s55, s54, -8
.LBB5_1298:                             ;   in Loop: Header=BB5_1270 Depth=2
	s_delay_alu instid0(SALU_CYCLE_1)
	s_cmp_gt_u32 s55, 7
	s_cbranch_scc1 .LBB5_1303
; %bb.1299:                             ;   in Loop: Header=BB5_1270 Depth=2
	v_mov_b64_e32 v[28:29], 0
	s_cmp_eq_u32 s55, 0
	s_cbranch_scc1 .LBB5_1302
; %bb.1300:                             ;   in Loop: Header=BB5_1270 Depth=2
	s_wait_xcnt 0x0
	s_mov_b64 s[2:3], 0
	s_mov_b64 s[52:53], 0
.LBB5_1301:                             ;   Parent Loop BB5_270 Depth=1
                                        ;     Parent Loop BB5_1270 Depth=2
                                        ; =>    This Inner Loop Header: Depth=3
	s_wait_xcnt 0x0
	s_add_nc_u64 s[60:61], s[50:51], s[52:53]
	s_add_nc_u64 s[52:53], s[52:53], 1
	global_load_u8 v0, v1, s[60:61]
	s_cmp_lg_u32 s55, s52
	s_wait_loadcnt 0x0
	v_and_b32_e32 v0, 0xffff, v0
	s_delay_alu instid0(VALU_DEP_1) | instskip(SKIP_1) | instid1(VALU_DEP_1)
	v_lshlrev_b64_e32 v[30:31], s2, v[0:1]
	s_add_nc_u64 s[2:3], s[2:3], 8
	v_or_b32_e32 v28, v30, v28
	s_delay_alu instid0(VALU_DEP_2)
	v_or_b32_e32 v29, v31, v29
	s_cbranch_scc1 .LBB5_1301
.LBB5_1302:                             ;   in Loop: Header=BB5_1270 Depth=2
	s_wait_xcnt 0x0
	s_mov_b64 s[2:3], s[50:51]
	s_mov_b32 s54, 0
	s_cbranch_execz .LBB5_1304
	s_branch .LBB5_1305
.LBB5_1303:                             ;   in Loop: Header=BB5_1270 Depth=2
	s_wait_xcnt 0x0
	s_add_nc_u64 s[2:3], s[50:51], 8
	s_mov_b32 s54, 0
.LBB5_1304:                             ;   in Loop: Header=BB5_1270 Depth=2
	global_load_b64 v[28:29], v1, s[50:51]
	s_add_co_i32 s54, s55, -8
.LBB5_1305:                             ;   in Loop: Header=BB5_1270 Depth=2
	s_delay_alu instid0(SALU_CYCLE_1)
	s_cmp_gt_u32 s54, 7
	s_cbranch_scc1 .LBB5_1310
; %bb.1306:                             ;   in Loop: Header=BB5_1270 Depth=2
	v_mov_b64_e32 v[30:31], 0
	s_cmp_eq_u32 s54, 0
	s_cbranch_scc1 .LBB5_1309
; %bb.1307:                             ;   in Loop: Header=BB5_1270 Depth=2
	s_wait_xcnt 0x0
	s_mov_b64 s[50:51], 0
	s_mov_b64 s[52:53], 0
.LBB5_1308:                             ;   Parent Loop BB5_270 Depth=1
                                        ;     Parent Loop BB5_1270 Depth=2
                                        ; =>    This Inner Loop Header: Depth=3
	s_wait_xcnt 0x0
	s_add_nc_u64 s[60:61], s[2:3], s[52:53]
	s_add_nc_u64 s[52:53], s[52:53], 1
	global_load_u8 v0, v1, s[60:61]
	s_cmp_lg_u32 s54, s52
	s_wait_loadcnt 0x0
	v_and_b32_e32 v0, 0xffff, v0
	s_delay_alu instid0(VALU_DEP_1) | instskip(SKIP_1) | instid1(VALU_DEP_1)
	v_lshlrev_b64_e32 v[32:33], s50, v[0:1]
	s_add_nc_u64 s[50:51], s[50:51], 8
	v_or_b32_e32 v30, v32, v30
	s_delay_alu instid0(VALU_DEP_2)
	v_or_b32_e32 v31, v33, v31
	s_cbranch_scc1 .LBB5_1308
.LBB5_1309:                             ;   in Loop: Header=BB5_1270 Depth=2
	s_wait_xcnt 0x0
	s_mov_b64 s[50:51], s[2:3]
	s_mov_b32 s55, 0
	s_cbranch_execz .LBB5_1311
	s_branch .LBB5_1312
.LBB5_1310:                             ;   in Loop: Header=BB5_1270 Depth=2
	s_wait_xcnt 0x0
	s_add_nc_u64 s[50:51], s[2:3], 8
                                        ; implicit-def: $vgpr30_vgpr31
	s_mov_b32 s55, 0
.LBB5_1311:                             ;   in Loop: Header=BB5_1270 Depth=2
	global_load_b64 v[30:31], v1, s[2:3]
	s_add_co_i32 s55, s54, -8
.LBB5_1312:                             ;   in Loop: Header=BB5_1270 Depth=2
	s_delay_alu instid0(SALU_CYCLE_1)
	s_cmp_gt_u32 s55, 7
	s_cbranch_scc1 .LBB5_1317
; %bb.1313:                             ;   in Loop: Header=BB5_1270 Depth=2
	v_mov_b64_e32 v[32:33], 0
	s_cmp_eq_u32 s55, 0
	s_cbranch_scc1 .LBB5_1316
; %bb.1314:                             ;   in Loop: Header=BB5_1270 Depth=2
	s_wait_xcnt 0x0
	s_mov_b64 s[2:3], 0
	s_mov_b64 s[52:53], s[50:51]
.LBB5_1315:                             ;   Parent Loop BB5_270 Depth=1
                                        ;     Parent Loop BB5_1270 Depth=2
                                        ; =>    This Inner Loop Header: Depth=3
	global_load_u8 v0, v1, s[52:53]
	s_add_co_i32 s55, s55, -1
	s_wait_xcnt 0x0
	s_add_nc_u64 s[52:53], s[52:53], 1
	s_cmp_lg_u32 s55, 0
	s_wait_loadcnt 0x0
	v_and_b32_e32 v0, 0xffff, v0
	s_delay_alu instid0(VALU_DEP_1) | instskip(SKIP_1) | instid1(VALU_DEP_1)
	v_lshlrev_b64_e32 v[34:35], s2, v[0:1]
	s_add_nc_u64 s[2:3], s[2:3], 8
	v_or_b32_e32 v32, v34, v32
	s_delay_alu instid0(VALU_DEP_2)
	v_or_b32_e32 v33, v35, v33
	s_cbranch_scc1 .LBB5_1315
.LBB5_1316:                             ;   in Loop: Header=BB5_1270 Depth=2
	s_wait_xcnt 0x0
	s_cbranch_execz .LBB5_1318
	s_branch .LBB5_1319
.LBB5_1317:                             ;   in Loop: Header=BB5_1270 Depth=2
	s_wait_xcnt 0x0
.LBB5_1318:                             ;   in Loop: Header=BB5_1270 Depth=2
	global_load_b64 v[32:33], v1, s[50:51]
.LBB5_1319:                             ;   in Loop: Header=BB5_1270 Depth=2
	v_readfirstlane_b32 s2, v56
	v_mov_b64_e32 v[38:39], 0
	s_delay_alu instid0(VALU_DEP_2)
	v_cmp_eq_u32_e64 s2, s2, v56
	s_wait_xcnt 0x0
	s_and_saveexec_b32 s3, s2
	s_cbranch_execz .LBB5_1325
; %bb.1320:                             ;   in Loop: Header=BB5_1270 Depth=2
	global_load_b64 v[36:37], v1, s[34:35] offset:24 scope:SCOPE_SYS
	s_wait_loadcnt 0x0
	global_inv scope:SCOPE_SYS
	s_clause 0x1
	global_load_b64 v[34:35], v1, s[34:35] offset:40
	global_load_b64 v[38:39], v1, s[34:35]
	s_mov_b32 s50, exec_lo
	s_wait_loadcnt 0x1
	v_and_b32_e32 v34, v34, v36
	v_and_b32_e32 v35, v35, v37
	s_delay_alu instid0(VALU_DEP_1) | instskip(SKIP_1) | instid1(VALU_DEP_1)
	v_mul_u64_e32 v[34:35], 24, v[34:35]
	s_wait_loadcnt 0x0
	v_add_nc_u64_e32 v[34:35], v[38:39], v[34:35]
	global_load_b64 v[34:35], v[34:35], off scope:SCOPE_SYS
	s_wait_xcnt 0x0
	s_wait_loadcnt 0x0
	global_atomic_cmpswap_b64 v[38:39], v1, v[34:37], s[34:35] offset:24 th:TH_ATOMIC_RETURN scope:SCOPE_SYS
	s_wait_loadcnt 0x0
	global_inv scope:SCOPE_SYS
	s_wait_xcnt 0x0
	v_cmpx_ne_u64_e64 v[38:39], v[36:37]
	s_cbranch_execz .LBB5_1324
; %bb.1321:                             ;   in Loop: Header=BB5_1270 Depth=2
	s_mov_b32 s51, 0
.LBB5_1322:                             ;   Parent Loop BB5_270 Depth=1
                                        ;     Parent Loop BB5_1270 Depth=2
                                        ; =>    This Inner Loop Header: Depth=3
	s_sleep 1
	s_clause 0x1
	global_load_b64 v[34:35], v1, s[34:35] offset:40
	global_load_b64 v[44:45], v1, s[34:35]
	v_mov_b64_e32 v[36:37], v[38:39]
	s_wait_loadcnt 0x1
	s_delay_alu instid0(VALU_DEP_1) | instskip(SKIP_1) | instid1(VALU_DEP_1)
	v_and_b32_e32 v0, v34, v36
	s_wait_loadcnt 0x0
	v_mad_nc_u64_u32 v[38:39], v0, 24, v[44:45]
	s_delay_alu instid0(VALU_DEP_3) | instskip(NEXT) | instid1(VALU_DEP_1)
	v_and_b32_e32 v0, v35, v37
	v_mad_u32 v39, v0, 24, v39
	global_load_b64 v[34:35], v[38:39], off scope:SCOPE_SYS
	s_wait_xcnt 0x0
	s_wait_loadcnt 0x0
	global_atomic_cmpswap_b64 v[38:39], v1, v[34:37], s[34:35] offset:24 th:TH_ATOMIC_RETURN scope:SCOPE_SYS
	s_wait_loadcnt 0x0
	global_inv scope:SCOPE_SYS
	v_cmp_eq_u64_e32 vcc_lo, v[38:39], v[36:37]
	s_or_b32 s51, vcc_lo, s51
	s_wait_xcnt 0x0
	s_and_not1_b32 exec_lo, exec_lo, s51
	s_cbranch_execnz .LBB5_1322
; %bb.1323:                             ;   in Loop: Header=BB5_1270 Depth=2
	s_or_b32 exec_lo, exec_lo, s51
.LBB5_1324:                             ;   in Loop: Header=BB5_1270 Depth=2
	s_delay_alu instid0(SALU_CYCLE_1)
	s_or_b32 exec_lo, exec_lo, s50
.LBB5_1325:                             ;   in Loop: Header=BB5_1270 Depth=2
	s_delay_alu instid0(SALU_CYCLE_1)
	s_or_b32 exec_lo, exec_lo, s3
	s_clause 0x1
	global_load_b64 v[44:45], v1, s[34:35] offset:40
	global_load_b128 v[34:37], v1, s[34:35]
	v_readfirstlane_b32 s50, v38
	v_readfirstlane_b32 s51, v39
	s_mov_b32 s3, exec_lo
	s_wait_loadcnt 0x1
	v_and_b32_e32 v44, s50, v44
	v_and_b32_e32 v45, s51, v45
	s_delay_alu instid0(VALU_DEP_1) | instskip(SKIP_1) | instid1(VALU_DEP_1)
	v_mul_u64_e32 v[38:39], 24, v[44:45]
	s_wait_loadcnt 0x0
	v_add_nc_u64_e32 v[38:39], v[34:35], v[38:39]
	s_wait_xcnt 0x0
	s_and_saveexec_b32 s52, s2
	s_cbranch_execz .LBB5_1327
; %bb.1326:                             ;   in Loop: Header=BB5_1270 Depth=2
	v_mov_b32_e32 v0, s3
	global_store_b128 v[38:39], v[0:3], off offset:8
.LBB5_1327:                             ;   in Loop: Header=BB5_1270 Depth=2
	s_wait_xcnt 0x0
	s_or_b32 exec_lo, exec_lo, s52
	v_cmp_lt_u64_e64 vcc_lo, s[44:45], 57
	v_lshlrev_b64_e32 v[44:45], 12, v[44:45]
	v_and_b32_e32 v5, 0xffffff1f, v18
	s_lshl_b32 s3, s48, 2
	s_delay_alu instid0(SALU_CYCLE_1) | instskip(SKIP_1) | instid1(VALU_DEP_3)
	s_add_co_i32 s3, s3, 28
	v_cndmask_b32_e32 v0, 0, v6, vcc_lo
	v_add_nc_u64_e32 v[36:37], v[36:37], v[44:45]
	s_delay_alu instid0(VALU_DEP_2) | instskip(NEXT) | instid1(VALU_DEP_2)
	v_or_b32_e32 v0, v5, v0
	v_readfirstlane_b32 s52, v36
	s_delay_alu instid0(VALU_DEP_3) | instskip(NEXT) | instid1(VALU_DEP_3)
	v_readfirstlane_b32 s53, v37
	v_and_or_b32 v18, 0x1e0, s3, v0
	s_clause 0x3
	global_store_b128 v42, v[18:21], s[52:53]
	global_store_b128 v42, v[22:25], s[52:53] offset:16
	global_store_b128 v42, v[26:29], s[52:53] offset:32
	;; [unrolled: 1-line block ×3, first 2 shown]
	s_wait_xcnt 0x0
	s_and_saveexec_b32 s3, s2
	s_cbranch_execz .LBB5_1335
; %bb.1328:                             ;   in Loop: Header=BB5_1270 Depth=2
	s_clause 0x1
	global_load_b64 v[26:27], v1, s[34:35] offset:32 scope:SCOPE_SYS
	global_load_b64 v[18:19], v1, s[34:35] offset:40
	s_mov_b32 s52, exec_lo
	v_dual_mov_b32 v24, s50 :: v_dual_mov_b32 v25, s51
	s_wait_loadcnt 0x0
	v_and_b32_e32 v19, s51, v19
	v_and_b32_e32 v18, s50, v18
	s_delay_alu instid0(VALU_DEP_1) | instskip(NEXT) | instid1(VALU_DEP_1)
	v_mul_u64_e32 v[18:19], 24, v[18:19]
	v_add_nc_u64_e32 v[22:23], v[34:35], v[18:19]
	global_store_b64 v[22:23], v[26:27], off
	global_wb scope:SCOPE_SYS
	s_wait_storecnt 0x0
	s_wait_xcnt 0x0
	global_atomic_cmpswap_b64 v[20:21], v1, v[24:27], s[34:35] offset:32 th:TH_ATOMIC_RETURN scope:SCOPE_SYS
	s_wait_loadcnt 0x0
	v_cmpx_ne_u64_e64 v[20:21], v[26:27]
	s_cbranch_execz .LBB5_1331
; %bb.1329:                             ;   in Loop: Header=BB5_1270 Depth=2
	s_mov_b32 s53, 0
.LBB5_1330:                             ;   Parent Loop BB5_270 Depth=1
                                        ;     Parent Loop BB5_1270 Depth=2
                                        ; =>    This Inner Loop Header: Depth=3
	v_dual_mov_b32 v18, s50 :: v_dual_mov_b32 v19, s51
	s_sleep 1
	global_store_b64 v[22:23], v[20:21], off
	global_wb scope:SCOPE_SYS
	s_wait_storecnt 0x0
	s_wait_xcnt 0x0
	global_atomic_cmpswap_b64 v[18:19], v1, v[18:21], s[34:35] offset:32 th:TH_ATOMIC_RETURN scope:SCOPE_SYS
	s_wait_loadcnt 0x0
	v_cmp_eq_u64_e32 vcc_lo, v[18:19], v[20:21]
	v_mov_b64_e32 v[20:21], v[18:19]
	s_or_b32 s53, vcc_lo, s53
	s_delay_alu instid0(SALU_CYCLE_1)
	s_and_not1_b32 exec_lo, exec_lo, s53
	s_cbranch_execnz .LBB5_1330
.LBB5_1331:                             ;   in Loop: Header=BB5_1270 Depth=2
	s_or_b32 exec_lo, exec_lo, s52
	global_load_b64 v[18:19], v1, s[34:35] offset:16
	s_mov_b32 s53, exec_lo
	s_mov_b32 s52, exec_lo
	v_mbcnt_lo_u32_b32 v0, s53, 0
	s_wait_xcnt 0x0
	s_delay_alu instid0(VALU_DEP_1)
	v_cmpx_eq_u32_e32 0, v0
	s_cbranch_execz .LBB5_1333
; %bb.1332:                             ;   in Loop: Header=BB5_1270 Depth=2
	s_bcnt1_i32_b32 s53, s53
	s_delay_alu instid0(SALU_CYCLE_1)
	v_mov_b32_e32 v0, s53
	global_wb scope:SCOPE_SYS
	s_wait_loadcnt 0x0
	s_wait_storecnt 0x0
	global_atomic_add_u64 v[18:19], v[0:1], off offset:8 scope:SCOPE_SYS
.LBB5_1333:                             ;   in Loop: Header=BB5_1270 Depth=2
	s_wait_xcnt 0x0
	s_or_b32 exec_lo, exec_lo, s52
	s_wait_loadcnt 0x0
	global_load_b64 v[20:21], v[18:19], off offset:16
	s_wait_loadcnt 0x0
	v_cmp_eq_u64_e32 vcc_lo, 0, v[20:21]
	s_cbranch_vccnz .LBB5_1335
; %bb.1334:                             ;   in Loop: Header=BB5_1270 Depth=2
	global_load_b32 v0, v[18:19], off offset:24
	s_wait_loadcnt 0x0
	v_readfirstlane_b32 s52, v0
	global_wb scope:SCOPE_SYS
	s_wait_storecnt 0x0
	s_wait_xcnt 0x0
	global_store_b64 v[20:21], v[0:1], off scope:SCOPE_SYS
	s_and_b32 m0, s52, 0xffffff
	s_sendmsg sendmsg(MSG_INTERRUPT)
.LBB5_1335:                             ;   in Loop: Header=BB5_1270 Depth=2
	s_wait_xcnt 0x0
	s_or_b32 exec_lo, exec_lo, s3
	v_mov_b32_e32 v43, v1
	s_delay_alu instid0(VALU_DEP_1)
	v_add_nc_u64_e32 v[18:19], v[36:37], v[42:43]
	s_branch .LBB5_1339
.LBB5_1336:                             ;   in Loop: Header=BB5_1339 Depth=3
	s_wait_xcnt 0x0
	s_or_b32 exec_lo, exec_lo, s3
	s_delay_alu instid0(VALU_DEP_1)
	v_readfirstlane_b32 s3, v0
	s_cmp_eq_u32 s3, 0
	s_cbranch_scc1 .LBB5_1338
; %bb.1337:                             ;   in Loop: Header=BB5_1339 Depth=3
	s_sleep 1
	s_cbranch_execnz .LBB5_1339
	s_branch .LBB5_1341
.LBB5_1338:                             ;   in Loop: Header=BB5_1270 Depth=2
	s_branch .LBB5_1341
.LBB5_1339:                             ;   Parent Loop BB5_270 Depth=1
                                        ;     Parent Loop BB5_1270 Depth=2
                                        ; =>    This Inner Loop Header: Depth=3
	v_mov_b32_e32 v0, 1
	s_and_saveexec_b32 s3, s2
	s_cbranch_execz .LBB5_1336
; %bb.1340:                             ;   in Loop: Header=BB5_1339 Depth=3
	global_load_b32 v0, v[38:39], off offset:20 scope:SCOPE_SYS
	s_wait_loadcnt 0x0
	global_inv scope:SCOPE_SYS
	v_and_b32_e32 v0, 1, v0
	s_branch .LBB5_1336
.LBB5_1341:                             ;   in Loop: Header=BB5_1270 Depth=2
	global_load_b64 v[18:19], v[18:19], off
	s_wait_xcnt 0x0
	s_and_saveexec_b32 s52, s2
	s_cbranch_execz .LBB5_1269
; %bb.1342:                             ;   in Loop: Header=BB5_1270 Depth=2
	s_clause 0x2
	global_load_b64 v[20:21], v1, s[34:35] offset:40
	global_load_b64 v[28:29], v1, s[34:35] offset:24 scope:SCOPE_SYS
	global_load_b64 v[22:23], v1, s[34:35]
	s_wait_loadcnt 0x2
	v_readfirstlane_b32 s54, v20
	v_readfirstlane_b32 s55, v21
	s_add_nc_u64 s[2:3], s[54:55], 1
	s_delay_alu instid0(SALU_CYCLE_1) | instskip(NEXT) | instid1(SALU_CYCLE_1)
	s_add_nc_u64 s[50:51], s[2:3], s[50:51]
	s_cmp_eq_u64 s[50:51], 0
	s_cselect_b32 s3, s3, s51
	s_cselect_b32 s2, s2, s50
	s_delay_alu instid0(SALU_CYCLE_1) | instskip(SKIP_1) | instid1(SALU_CYCLE_1)
	v_dual_mov_b32 v27, s3 :: v_dual_mov_b32 v26, s2
	s_and_b64 s[50:51], s[2:3], s[54:55]
	s_mul_u64 s[50:51], s[50:51], 24
	s_wait_loadcnt 0x0
	v_add_nc_u64_e32 v[24:25], s[50:51], v[22:23]
	global_store_b64 v[24:25], v[28:29], off
	global_wb scope:SCOPE_SYS
	s_wait_storecnt 0x0
	s_wait_xcnt 0x0
	global_atomic_cmpswap_b64 v[22:23], v1, v[26:29], s[34:35] offset:24 th:TH_ATOMIC_RETURN scope:SCOPE_SYS
	s_wait_loadcnt 0x0
	v_cmp_ne_u64_e32 vcc_lo, v[22:23], v[28:29]
	s_and_b32 exec_lo, exec_lo, vcc_lo
	s_cbranch_execz .LBB5_1269
; %bb.1343:                             ;   in Loop: Header=BB5_1270 Depth=2
	s_mov_b32 s50, 0
.LBB5_1344:                             ;   Parent Loop BB5_270 Depth=1
                                        ;     Parent Loop BB5_1270 Depth=2
                                        ; =>    This Inner Loop Header: Depth=3
	v_dual_mov_b32 v20, s2 :: v_dual_mov_b32 v21, s3
	s_sleep 1
	global_store_b64 v[24:25], v[22:23], off
	global_wb scope:SCOPE_SYS
	s_wait_storecnt 0x0
	s_wait_xcnt 0x0
	global_atomic_cmpswap_b64 v[20:21], v1, v[20:23], s[34:35] offset:24 th:TH_ATOMIC_RETURN scope:SCOPE_SYS
	s_wait_loadcnt 0x0
	v_cmp_eq_u64_e32 vcc_lo, v[20:21], v[22:23]
	v_mov_b64_e32 v[22:23], v[20:21]
	s_or_b32 s50, vcc_lo, s50
	s_delay_alu instid0(SALU_CYCLE_1)
	s_and_not1_b32 exec_lo, exec_lo, s50
	s_cbranch_execnz .LBB5_1344
	s_branch .LBB5_1269
.LBB5_1345:                             ;   in Loop: Header=BB5_270 Depth=1
	s_branch .LBB5_1374
.LBB5_1346:                             ;   in Loop: Header=BB5_270 Depth=1
                                        ; implicit-def: $vgpr18_vgpr19
	s_cbranch_execz .LBB5_1374
; %bb.1347:                             ;   in Loop: Header=BB5_270 Depth=1
	v_readfirstlane_b32 s2, v56
	v_mov_b64_e32 v[6:7], 0
	s_delay_alu instid0(VALU_DEP_2)
	v_cmp_eq_u32_e64 s2, s2, v56
	s_and_saveexec_b32 s3, s2
	s_cbranch_execz .LBB5_1353
; %bb.1348:                             ;   in Loop: Header=BB5_270 Depth=1
	global_load_b64 v[20:21], v1, s[34:35] offset:24 scope:SCOPE_SYS
	s_wait_loadcnt 0x0
	global_inv scope:SCOPE_SYS
	s_clause 0x1
	global_load_b64 v[6:7], v1, s[34:35] offset:40
	global_load_b64 v[18:19], v1, s[34:35]
	s_mov_b32 s44, exec_lo
	s_wait_loadcnt 0x1
	v_and_b32_e32 v6, v6, v20
	v_and_b32_e32 v7, v7, v21
	s_delay_alu instid0(VALU_DEP_1) | instskip(SKIP_1) | instid1(VALU_DEP_1)
	v_mul_u64_e32 v[6:7], 24, v[6:7]
	s_wait_loadcnt 0x0
	v_add_nc_u64_e32 v[6:7], v[18:19], v[6:7]
	global_load_b64 v[18:19], v[6:7], off scope:SCOPE_SYS
	s_wait_xcnt 0x0
	s_wait_loadcnt 0x0
	global_atomic_cmpswap_b64 v[6:7], v1, v[18:21], s[34:35] offset:24 th:TH_ATOMIC_RETURN scope:SCOPE_SYS
	s_wait_loadcnt 0x0
	global_inv scope:SCOPE_SYS
	s_wait_xcnt 0x0
	v_cmpx_ne_u64_e64 v[6:7], v[20:21]
	s_cbranch_execz .LBB5_1352
; %bb.1349:                             ;   in Loop: Header=BB5_270 Depth=1
	s_mov_b32 s45, 0
.LBB5_1350:                             ;   Parent Loop BB5_270 Depth=1
                                        ; =>  This Inner Loop Header: Depth=2
	s_sleep 1
	s_clause 0x1
	global_load_b64 v[18:19], v1, s[34:35] offset:40
	global_load_b64 v[22:23], v1, s[34:35]
	v_mov_b64_e32 v[20:21], v[6:7]
	s_wait_loadcnt 0x1
	s_delay_alu instid0(VALU_DEP_1) | instskip(SKIP_1) | instid1(VALU_DEP_1)
	v_and_b32_e32 v0, v18, v20
	s_wait_loadcnt 0x0
	v_mad_nc_u64_u32 v[6:7], v0, 24, v[22:23]
	s_delay_alu instid0(VALU_DEP_3) | instskip(NEXT) | instid1(VALU_DEP_1)
	v_and_b32_e32 v0, v19, v21
	v_mad_u32 v7, v0, 24, v7
	global_load_b64 v[18:19], v[6:7], off scope:SCOPE_SYS
	s_wait_xcnt 0x0
	s_wait_loadcnt 0x0
	global_atomic_cmpswap_b64 v[6:7], v1, v[18:21], s[34:35] offset:24 th:TH_ATOMIC_RETURN scope:SCOPE_SYS
	s_wait_loadcnt 0x0
	global_inv scope:SCOPE_SYS
	v_cmp_eq_u64_e32 vcc_lo, v[6:7], v[20:21]
	s_or_b32 s45, vcc_lo, s45
	s_wait_xcnt 0x0
	s_and_not1_b32 exec_lo, exec_lo, s45
	s_cbranch_execnz .LBB5_1350
; %bb.1351:                             ;   in Loop: Header=BB5_270 Depth=1
	s_or_b32 exec_lo, exec_lo, s45
.LBB5_1352:                             ;   in Loop: Header=BB5_270 Depth=1
	s_delay_alu instid0(SALU_CYCLE_1)
	s_or_b32 exec_lo, exec_lo, s44
.LBB5_1353:                             ;   in Loop: Header=BB5_270 Depth=1
	s_delay_alu instid0(SALU_CYCLE_1)
	s_or_b32 exec_lo, exec_lo, s3
	s_wait_loadcnt 0x0
	s_clause 0x1
	global_load_b64 v[18:19], v1, s[34:35] offset:40
	global_load_b128 v[20:23], v1, s[34:35]
	v_readfirstlane_b32 s44, v6
	v_readfirstlane_b32 s45, v7
	s_mov_b32 s3, exec_lo
	s_wait_loadcnt 0x1
	v_and_b32_e32 v18, s44, v18
	v_and_b32_e32 v19, s45, v19
	s_delay_alu instid0(VALU_DEP_1) | instskip(SKIP_1) | instid1(VALU_DEP_1)
	v_mul_u64_e32 v[6:7], 24, v[18:19]
	s_wait_loadcnt 0x0
	v_add_nc_u64_e32 v[6:7], v[20:21], v[6:7]
	s_wait_xcnt 0x0
	s_and_saveexec_b32 s46, s2
	s_cbranch_execz .LBB5_1355
; %bb.1354:                             ;   in Loop: Header=BB5_270 Depth=1
	v_mov_b32_e32 v0, s3
	global_store_b128 v[6:7], v[0:3], off offset:8
.LBB5_1355:                             ;   in Loop: Header=BB5_270 Depth=1
	s_wait_xcnt 0x0
	s_or_b32 exec_lo, exec_lo, s46
	v_lshlrev_b64_e32 v[18:19], 12, v[18:19]
	v_mov_b64_e32 v[26:27], s[6:7]
	v_mov_b64_e32 v[24:25], s[4:5]
	v_and_or_b32 v16, 0xffffff1f, v16, 32
	s_delay_alu instid0(VALU_DEP_4) | instskip(SKIP_1) | instid1(VALU_DEP_2)
	v_add_nc_u64_e32 v[22:23], v[22:23], v[18:19]
	v_dual_mov_b32 v18, v1 :: v_dual_mov_b32 v19, v1
	v_readfirstlane_b32 s46, v22
	s_delay_alu instid0(VALU_DEP_3)
	v_readfirstlane_b32 s47, v23
	s_clause 0x3
	global_store_b128 v42, v[16:19], s[46:47]
	global_store_b128 v42, v[24:27], s[46:47] offset:16
	global_store_b128 v42, v[24:27], s[46:47] offset:32
	;; [unrolled: 1-line block ×3, first 2 shown]
	s_wait_xcnt 0x0
	s_and_saveexec_b32 s3, s2
	s_cbranch_execz .LBB5_1363
; %bb.1356:                             ;   in Loop: Header=BB5_270 Depth=1
	s_clause 0x1
	global_load_b64 v[26:27], v1, s[34:35] offset:32 scope:SCOPE_SYS
	global_load_b64 v[16:17], v1, s[34:35] offset:40
	s_mov_b32 s46, exec_lo
	v_dual_mov_b32 v24, s44 :: v_dual_mov_b32 v25, s45
	s_wait_loadcnt 0x0
	v_and_b32_e32 v17, s45, v17
	v_and_b32_e32 v16, s44, v16
	s_delay_alu instid0(VALU_DEP_1) | instskip(NEXT) | instid1(VALU_DEP_1)
	v_mul_u64_e32 v[16:17], 24, v[16:17]
	v_add_nc_u64_e32 v[20:21], v[20:21], v[16:17]
	global_store_b64 v[20:21], v[26:27], off
	global_wb scope:SCOPE_SYS
	s_wait_storecnt 0x0
	s_wait_xcnt 0x0
	global_atomic_cmpswap_b64 v[18:19], v1, v[24:27], s[34:35] offset:32 th:TH_ATOMIC_RETURN scope:SCOPE_SYS
	s_wait_loadcnt 0x0
	v_cmpx_ne_u64_e64 v[18:19], v[26:27]
	s_cbranch_execz .LBB5_1359
; %bb.1357:                             ;   in Loop: Header=BB5_270 Depth=1
	s_mov_b32 s47, 0
.LBB5_1358:                             ;   Parent Loop BB5_270 Depth=1
                                        ; =>  This Inner Loop Header: Depth=2
	v_dual_mov_b32 v16, s44 :: v_dual_mov_b32 v17, s45
	s_sleep 1
	global_store_b64 v[20:21], v[18:19], off
	global_wb scope:SCOPE_SYS
	s_wait_storecnt 0x0
	s_wait_xcnt 0x0
	global_atomic_cmpswap_b64 v[16:17], v1, v[16:19], s[34:35] offset:32 th:TH_ATOMIC_RETURN scope:SCOPE_SYS
	s_wait_loadcnt 0x0
	v_cmp_eq_u64_e32 vcc_lo, v[16:17], v[18:19]
	v_mov_b64_e32 v[18:19], v[16:17]
	s_or_b32 s47, vcc_lo, s47
	s_delay_alu instid0(SALU_CYCLE_1)
	s_and_not1_b32 exec_lo, exec_lo, s47
	s_cbranch_execnz .LBB5_1358
.LBB5_1359:                             ;   in Loop: Header=BB5_270 Depth=1
	s_or_b32 exec_lo, exec_lo, s46
	global_load_b64 v[16:17], v1, s[34:35] offset:16
	s_mov_b32 s47, exec_lo
	s_mov_b32 s46, exec_lo
	v_mbcnt_lo_u32_b32 v0, s47, 0
	s_wait_xcnt 0x0
	s_delay_alu instid0(VALU_DEP_1)
	v_cmpx_eq_u32_e32 0, v0
	s_cbranch_execz .LBB5_1361
; %bb.1360:                             ;   in Loop: Header=BB5_270 Depth=1
	s_bcnt1_i32_b32 s47, s47
	s_delay_alu instid0(SALU_CYCLE_1)
	v_mov_b32_e32 v0, s47
	global_wb scope:SCOPE_SYS
	s_wait_loadcnt 0x0
	s_wait_storecnt 0x0
	global_atomic_add_u64 v[16:17], v[0:1], off offset:8 scope:SCOPE_SYS
.LBB5_1361:                             ;   in Loop: Header=BB5_270 Depth=1
	s_wait_xcnt 0x0
	s_or_b32 exec_lo, exec_lo, s46
	s_wait_loadcnt 0x0
	global_load_b64 v[18:19], v[16:17], off offset:16
	s_wait_loadcnt 0x0
	v_cmp_eq_u64_e32 vcc_lo, 0, v[18:19]
	s_cbranch_vccnz .LBB5_1363
; %bb.1362:                             ;   in Loop: Header=BB5_270 Depth=1
	global_load_b32 v0, v[16:17], off offset:24
	s_wait_loadcnt 0x0
	v_readfirstlane_b32 s46, v0
	global_wb scope:SCOPE_SYS
	s_wait_storecnt 0x0
	s_wait_xcnt 0x0
	global_store_b64 v[18:19], v[0:1], off scope:SCOPE_SYS
	s_and_b32 m0, s46, 0xffffff
	s_sendmsg sendmsg(MSG_INTERRUPT)
.LBB5_1363:                             ;   in Loop: Header=BB5_270 Depth=1
	s_wait_xcnt 0x0
	s_or_b32 exec_lo, exec_lo, s3
	v_mov_b32_e32 v43, v1
	s_delay_alu instid0(VALU_DEP_1)
	v_add_nc_u64_e32 v[16:17], v[22:23], v[42:43]
	s_branch .LBB5_1367
.LBB5_1364:                             ;   in Loop: Header=BB5_1367 Depth=2
	s_wait_xcnt 0x0
	s_or_b32 exec_lo, exec_lo, s3
	s_delay_alu instid0(VALU_DEP_1)
	v_readfirstlane_b32 s3, v0
	s_cmp_eq_u32 s3, 0
	s_cbranch_scc1 .LBB5_1366
; %bb.1365:                             ;   in Loop: Header=BB5_1367 Depth=2
	s_sleep 1
	s_cbranch_execnz .LBB5_1367
	s_branch .LBB5_1369
.LBB5_1366:                             ;   in Loop: Header=BB5_270 Depth=1
	s_branch .LBB5_1369
.LBB5_1367:                             ;   Parent Loop BB5_270 Depth=1
                                        ; =>  This Inner Loop Header: Depth=2
	v_mov_b32_e32 v0, 1
	s_and_saveexec_b32 s3, s2
	s_cbranch_execz .LBB5_1364
; %bb.1368:                             ;   in Loop: Header=BB5_1367 Depth=2
	global_load_b32 v0, v[6:7], off offset:20 scope:SCOPE_SYS
	s_wait_loadcnt 0x0
	global_inv scope:SCOPE_SYS
	v_and_b32_e32 v0, 1, v0
	s_branch .LBB5_1364
.LBB5_1369:                             ;   in Loop: Header=BB5_270 Depth=1
	global_load_b64 v[18:19], v[16:17], off
	s_wait_xcnt 0x0
	s_and_saveexec_b32 s46, s2
	s_cbranch_execz .LBB5_1373
; %bb.1370:                             ;   in Loop: Header=BB5_270 Depth=1
	s_clause 0x2
	global_load_b64 v[6:7], v1, s[34:35] offset:40
	global_load_b64 v[24:25], v1, s[34:35] offset:24 scope:SCOPE_SYS
	global_load_b64 v[16:17], v1, s[34:35]
	s_wait_loadcnt 0x2
	v_readfirstlane_b32 s48, v6
	v_readfirstlane_b32 s49, v7
	s_add_nc_u64 s[2:3], s[48:49], 1
	s_delay_alu instid0(SALU_CYCLE_1) | instskip(NEXT) | instid1(SALU_CYCLE_1)
	s_add_nc_u64 s[44:45], s[2:3], s[44:45]
	s_cmp_eq_u64 s[44:45], 0
	s_cselect_b32 s3, s3, s45
	s_cselect_b32 s2, s2, s44
	s_delay_alu instid0(SALU_CYCLE_1) | instskip(SKIP_1) | instid1(SALU_CYCLE_1)
	v_dual_mov_b32 v23, s3 :: v_dual_mov_b32 v22, s2
	s_and_b64 s[44:45], s[2:3], s[48:49]
	s_mul_u64 s[44:45], s[44:45], 24
	s_wait_loadcnt 0x0
	v_add_nc_u64_e32 v[6:7], s[44:45], v[16:17]
	global_store_b64 v[6:7], v[24:25], off
	global_wb scope:SCOPE_SYS
	s_wait_storecnt 0x0
	s_wait_xcnt 0x0
	global_atomic_cmpswap_b64 v[22:23], v1, v[22:25], s[34:35] offset:24 th:TH_ATOMIC_RETURN scope:SCOPE_SYS
	s_wait_loadcnt 0x0
	v_cmp_ne_u64_e32 vcc_lo, v[22:23], v[24:25]
	s_and_b32 exec_lo, exec_lo, vcc_lo
	s_cbranch_execz .LBB5_1373
; %bb.1371:                             ;   in Loop: Header=BB5_270 Depth=1
	s_mov_b32 s44, 0
.LBB5_1372:                             ;   Parent Loop BB5_270 Depth=1
                                        ; =>  This Inner Loop Header: Depth=2
	v_dual_mov_b32 v20, s2 :: v_dual_mov_b32 v21, s3
	s_sleep 1
	global_store_b64 v[6:7], v[22:23], off
	global_wb scope:SCOPE_SYS
	s_wait_storecnt 0x0
	s_wait_xcnt 0x0
	global_atomic_cmpswap_b64 v[16:17], v1, v[20:23], s[34:35] offset:24 th:TH_ATOMIC_RETURN scope:SCOPE_SYS
	s_wait_loadcnt 0x0
	v_cmp_eq_u64_e32 vcc_lo, v[16:17], v[22:23]
	v_mov_b64_e32 v[22:23], v[16:17]
	s_or_b32 s44, vcc_lo, s44
	s_delay_alu instid0(SALU_CYCLE_1)
	s_and_not1_b32 exec_lo, exec_lo, s44
	s_cbranch_execnz .LBB5_1372
.LBB5_1373:                             ;   in Loop: Header=BB5_270 Depth=1
	s_or_b32 exec_lo, exec_lo, s46
.LBB5_1374:                             ;   in Loop: Header=BB5_270 Depth=1
	v_readfirstlane_b32 s2, v56
	v_mov_b64_e32 v[6:7], 0
	s_delay_alu instid0(VALU_DEP_2)
	v_cmp_eq_u32_e64 s2, s2, v56
	s_and_saveexec_b32 s3, s2
	s_cbranch_execz .LBB5_1380
; %bb.1375:                             ;   in Loop: Header=BB5_270 Depth=1
	global_load_b64 v[22:23], v1, s[34:35] offset:24 scope:SCOPE_SYS
	s_wait_loadcnt 0x0
	global_inv scope:SCOPE_SYS
	s_clause 0x1
	global_load_b64 v[6:7], v1, s[34:35] offset:40
	global_load_b64 v[16:17], v1, s[34:35]
	s_mov_b32 s44, exec_lo
	s_wait_loadcnt 0x1
	v_and_b32_e32 v6, v6, v22
	v_and_b32_e32 v7, v7, v23
	s_delay_alu instid0(VALU_DEP_1) | instskip(SKIP_1) | instid1(VALU_DEP_1)
	v_mul_u64_e32 v[6:7], 24, v[6:7]
	s_wait_loadcnt 0x0
	v_add_nc_u64_e32 v[6:7], v[16:17], v[6:7]
	global_load_b64 v[20:21], v[6:7], off scope:SCOPE_SYS
	s_wait_xcnt 0x0
	s_wait_loadcnt 0x0
	global_atomic_cmpswap_b64 v[6:7], v1, v[20:23], s[34:35] offset:24 th:TH_ATOMIC_RETURN scope:SCOPE_SYS
	s_wait_loadcnt 0x0
	global_inv scope:SCOPE_SYS
	s_wait_xcnt 0x0
	v_cmpx_ne_u64_e64 v[6:7], v[22:23]
	s_cbranch_execz .LBB5_1379
; %bb.1376:                             ;   in Loop: Header=BB5_270 Depth=1
	s_mov_b32 s45, 0
.LBB5_1377:                             ;   Parent Loop BB5_270 Depth=1
                                        ; =>  This Inner Loop Header: Depth=2
	s_sleep 1
	s_clause 0x1
	global_load_b64 v[16:17], v1, s[34:35] offset:40
	global_load_b64 v[20:21], v1, s[34:35]
	v_mov_b64_e32 v[22:23], v[6:7]
	s_wait_loadcnt 0x1
	s_delay_alu instid0(VALU_DEP_1) | instskip(SKIP_1) | instid1(VALU_DEP_1)
	v_and_b32_e32 v0, v16, v22
	s_wait_loadcnt 0x0
	v_mad_nc_u64_u32 v[6:7], v0, 24, v[20:21]
	s_delay_alu instid0(VALU_DEP_3) | instskip(NEXT) | instid1(VALU_DEP_1)
	v_and_b32_e32 v0, v17, v23
	v_mad_u32 v7, v0, 24, v7
	global_load_b64 v[20:21], v[6:7], off scope:SCOPE_SYS
	s_wait_xcnt 0x0
	s_wait_loadcnt 0x0
	global_atomic_cmpswap_b64 v[6:7], v1, v[20:23], s[34:35] offset:24 th:TH_ATOMIC_RETURN scope:SCOPE_SYS
	s_wait_loadcnt 0x0
	global_inv scope:SCOPE_SYS
	v_cmp_eq_u64_e32 vcc_lo, v[6:7], v[22:23]
	s_or_b32 s45, vcc_lo, s45
	s_wait_xcnt 0x0
	s_and_not1_b32 exec_lo, exec_lo, s45
	s_cbranch_execnz .LBB5_1377
; %bb.1378:                             ;   in Loop: Header=BB5_270 Depth=1
	s_or_b32 exec_lo, exec_lo, s45
.LBB5_1379:                             ;   in Loop: Header=BB5_270 Depth=1
	s_delay_alu instid0(SALU_CYCLE_1)
	s_or_b32 exec_lo, exec_lo, s44
.LBB5_1380:                             ;   in Loop: Header=BB5_270 Depth=1
	s_delay_alu instid0(SALU_CYCLE_1)
	s_or_b32 exec_lo, exec_lo, s3
	s_wait_loadcnt 0x0
	s_clause 0x1
	global_load_b64 v[16:17], v1, s[34:35] offset:40
	global_load_b128 v[22:25], v1, s[34:35]
	v_readfirstlane_b32 s44, v6
	v_readfirstlane_b32 s45, v7
	s_mov_b32 s3, exec_lo
	s_wait_loadcnt 0x1
	v_and_b32_e32 v16, s44, v16
	v_and_b32_e32 v17, s45, v17
	s_delay_alu instid0(VALU_DEP_1) | instskip(SKIP_1) | instid1(VALU_DEP_1)
	v_mul_u64_e32 v[6:7], 24, v[16:17]
	s_wait_loadcnt 0x0
	v_add_nc_u64_e32 v[6:7], v[22:23], v[6:7]
	s_wait_xcnt 0x0
	s_and_saveexec_b32 s46, s2
	s_cbranch_execz .LBB5_1382
; %bb.1381:                             ;   in Loop: Header=BB5_270 Depth=1
	v_mov_b32_e32 v0, s3
	global_store_b128 v[6:7], v[0:3], off offset:8
.LBB5_1382:                             ;   in Loop: Header=BB5_270 Depth=1
	s_wait_xcnt 0x0
	s_or_b32 exec_lo, exec_lo, s46
	v_lshlrev_b64_e32 v[16:17], 12, v[16:17]
	v_and_or_b32 v18, 0xffffff1d, v18, 34
	v_dual_mov_b32 v20, v46 :: v_dual_mov_b32 v21, v1
	s_delay_alu instid0(VALU_DEP_3) | instskip(SKIP_2) | instid1(VALU_DEP_3)
	v_add_nc_u64_e32 v[16:17], v[24:25], v[16:17]
	v_mov_b64_e32 v[26:27], s[6:7]
	v_mov_b64_e32 v[24:25], s[4:5]
	v_readfirstlane_b32 s46, v16
	s_delay_alu instid0(VALU_DEP_4)
	v_readfirstlane_b32 s47, v17
	s_clause 0x3
	global_store_b128 v42, v[18:21], s[46:47]
	global_store_b128 v42, v[24:27], s[46:47] offset:16
	global_store_b128 v42, v[24:27], s[46:47] offset:32
	;; [unrolled: 1-line block ×3, first 2 shown]
	s_wait_xcnt 0x0
	s_and_saveexec_b32 s3, s2
	s_cbranch_execz .LBB5_1390
; %bb.1383:                             ;   in Loop: Header=BB5_270 Depth=1
	s_clause 0x1
	global_load_b64 v[24:25], v1, s[34:35] offset:32 scope:SCOPE_SYS
	global_load_b64 v[16:17], v1, s[34:35] offset:40
	s_mov_b32 s46, exec_lo
	s_wait_loadcnt 0x0
	v_and_b32_e32 v16, s44, v16
	v_and_b32_e32 v17, s45, v17
	s_delay_alu instid0(VALU_DEP_1) | instskip(NEXT) | instid1(VALU_DEP_1)
	v_mul_u64_e32 v[16:17], 24, v[16:17]
	v_add_nc_u64_e32 v[20:21], v[22:23], v[16:17]
	v_dual_mov_b32 v22, s44 :: v_dual_mov_b32 v23, s45
	global_store_b64 v[20:21], v[24:25], off
	global_wb scope:SCOPE_SYS
	s_wait_storecnt 0x0
	s_wait_xcnt 0x0
	global_atomic_cmpswap_b64 v[18:19], v1, v[22:25], s[34:35] offset:32 th:TH_ATOMIC_RETURN scope:SCOPE_SYS
	s_wait_loadcnt 0x0
	v_cmpx_ne_u64_e64 v[18:19], v[24:25]
	s_cbranch_execz .LBB5_1386
; %bb.1384:                             ;   in Loop: Header=BB5_270 Depth=1
	s_mov_b32 s47, 0
.LBB5_1385:                             ;   Parent Loop BB5_270 Depth=1
                                        ; =>  This Inner Loop Header: Depth=2
	v_dual_mov_b32 v16, s44 :: v_dual_mov_b32 v17, s45
	s_sleep 1
	global_store_b64 v[20:21], v[18:19], off
	global_wb scope:SCOPE_SYS
	s_wait_storecnt 0x0
	s_wait_xcnt 0x0
	global_atomic_cmpswap_b64 v[16:17], v1, v[16:19], s[34:35] offset:32 th:TH_ATOMIC_RETURN scope:SCOPE_SYS
	s_wait_loadcnt 0x0
	v_cmp_eq_u64_e32 vcc_lo, v[16:17], v[18:19]
	v_mov_b64_e32 v[18:19], v[16:17]
	s_or_b32 s47, vcc_lo, s47
	s_delay_alu instid0(SALU_CYCLE_1)
	s_and_not1_b32 exec_lo, exec_lo, s47
	s_cbranch_execnz .LBB5_1385
.LBB5_1386:                             ;   in Loop: Header=BB5_270 Depth=1
	s_or_b32 exec_lo, exec_lo, s46
	global_load_b64 v[16:17], v1, s[34:35] offset:16
	s_mov_b32 s47, exec_lo
	s_mov_b32 s46, exec_lo
	v_mbcnt_lo_u32_b32 v0, s47, 0
	s_wait_xcnt 0x0
	s_delay_alu instid0(VALU_DEP_1)
	v_cmpx_eq_u32_e32 0, v0
	s_cbranch_execz .LBB5_1388
; %bb.1387:                             ;   in Loop: Header=BB5_270 Depth=1
	s_bcnt1_i32_b32 s47, s47
	s_delay_alu instid0(SALU_CYCLE_1)
	v_mov_b32_e32 v0, s47
	global_wb scope:SCOPE_SYS
	s_wait_loadcnt 0x0
	s_wait_storecnt 0x0
	global_atomic_add_u64 v[16:17], v[0:1], off offset:8 scope:SCOPE_SYS
.LBB5_1388:                             ;   in Loop: Header=BB5_270 Depth=1
	s_wait_xcnt 0x0
	s_or_b32 exec_lo, exec_lo, s46
	s_wait_loadcnt 0x0
	global_load_b64 v[18:19], v[16:17], off offset:16
	s_wait_loadcnt 0x0
	v_cmp_eq_u64_e32 vcc_lo, 0, v[18:19]
	s_cbranch_vccnz .LBB5_1390
; %bb.1389:                             ;   in Loop: Header=BB5_270 Depth=1
	global_load_b32 v0, v[16:17], off offset:24
	s_wait_loadcnt 0x0
	v_readfirstlane_b32 s46, v0
	global_wb scope:SCOPE_SYS
	s_wait_storecnt 0x0
	s_wait_xcnt 0x0
	global_store_b64 v[18:19], v[0:1], off scope:SCOPE_SYS
	s_and_b32 m0, s46, 0xffffff
	s_sendmsg sendmsg(MSG_INTERRUPT)
.LBB5_1390:                             ;   in Loop: Header=BB5_270 Depth=1
	s_wait_xcnt 0x0
	s_or_b32 exec_lo, exec_lo, s3
	s_branch .LBB5_1394
.LBB5_1391:                             ;   in Loop: Header=BB5_1394 Depth=2
	s_wait_xcnt 0x0
	s_or_b32 exec_lo, exec_lo, s3
	s_delay_alu instid0(VALU_DEP_1)
	v_readfirstlane_b32 s3, v0
	s_cmp_eq_u32 s3, 0
	s_cbranch_scc1 .LBB5_1393
; %bb.1392:                             ;   in Loop: Header=BB5_1394 Depth=2
	s_sleep 1
	s_cbranch_execnz .LBB5_1394
	s_branch .LBB5_1396
.LBB5_1393:                             ;   in Loop: Header=BB5_270 Depth=1
	s_branch .LBB5_1396
.LBB5_1394:                             ;   Parent Loop BB5_270 Depth=1
                                        ; =>  This Inner Loop Header: Depth=2
	v_mov_b32_e32 v0, 1
	s_and_saveexec_b32 s3, s2
	s_cbranch_execz .LBB5_1391
; %bb.1395:                             ;   in Loop: Header=BB5_1394 Depth=2
	global_load_b32 v0, v[6:7], off offset:20 scope:SCOPE_SYS
	s_wait_loadcnt 0x0
	global_inv scope:SCOPE_SYS
	v_and_b32_e32 v0, 1, v0
	s_branch .LBB5_1391
.LBB5_1396:                             ;   in Loop: Header=BB5_270 Depth=1
	s_and_saveexec_b32 s46, s2
	s_cbranch_execz .LBB5_1400
; %bb.1397:                             ;   in Loop: Header=BB5_270 Depth=1
	s_clause 0x2
	global_load_b64 v[6:7], v1, s[34:35] offset:40
	global_load_b64 v[20:21], v1, s[34:35] offset:24 scope:SCOPE_SYS
	global_load_b64 v[16:17], v1, s[34:35]
	s_wait_loadcnt 0x2
	v_readfirstlane_b32 s48, v6
	v_readfirstlane_b32 s49, v7
	s_add_nc_u64 s[2:3], s[48:49], 1
	s_delay_alu instid0(SALU_CYCLE_1) | instskip(NEXT) | instid1(SALU_CYCLE_1)
	s_add_nc_u64 s[44:45], s[2:3], s[44:45]
	s_cmp_eq_u64 s[44:45], 0
	s_cselect_b32 s3, s3, s45
	s_cselect_b32 s2, s2, s44
	s_delay_alu instid0(SALU_CYCLE_1) | instskip(SKIP_1) | instid1(SALU_CYCLE_1)
	v_dual_mov_b32 v19, s3 :: v_dual_mov_b32 v18, s2
	s_and_b64 s[44:45], s[2:3], s[48:49]
	s_mul_u64 s[44:45], s[44:45], 24
	s_wait_loadcnt 0x0
	v_add_nc_u64_e32 v[6:7], s[44:45], v[16:17]
	global_store_b64 v[6:7], v[20:21], off
	global_wb scope:SCOPE_SYS
	s_wait_storecnt 0x0
	s_wait_xcnt 0x0
	global_atomic_cmpswap_b64 v[18:19], v1, v[18:21], s[34:35] offset:24 th:TH_ATOMIC_RETURN scope:SCOPE_SYS
	s_wait_loadcnt 0x0
	v_cmp_ne_u64_e32 vcc_lo, v[18:19], v[20:21]
	s_and_b32 exec_lo, exec_lo, vcc_lo
	s_cbranch_execz .LBB5_1400
; %bb.1398:                             ;   in Loop: Header=BB5_270 Depth=1
	s_mov_b32 s44, 0
.LBB5_1399:                             ;   Parent Loop BB5_270 Depth=1
                                        ; =>  This Inner Loop Header: Depth=2
	v_dual_mov_b32 v16, s2 :: v_dual_mov_b32 v17, s3
	s_sleep 1
	global_store_b64 v[6:7], v[18:19], off
	global_wb scope:SCOPE_SYS
	s_wait_storecnt 0x0
	s_wait_xcnt 0x0
	global_atomic_cmpswap_b64 v[16:17], v1, v[16:19], s[34:35] offset:24 th:TH_ATOMIC_RETURN scope:SCOPE_SYS
	s_wait_loadcnt 0x0
	v_cmp_eq_u64_e32 vcc_lo, v[16:17], v[18:19]
	v_mov_b64_e32 v[18:19], v[16:17]
	s_or_b32 s44, vcc_lo, s44
	s_delay_alu instid0(SALU_CYCLE_1)
	s_and_not1_b32 exec_lo, exec_lo, s44
	s_cbranch_execnz .LBB5_1399
.LBB5_1400:                             ;   in Loop: Header=BB5_270 Depth=1
	s_or_b32 exec_lo, exec_lo, s46
	v_readfirstlane_b32 s2, v56
	v_mov_b64_e32 v[6:7], 0
	s_delay_alu instid0(VALU_DEP_2)
	v_cmp_eq_u32_e64 s2, s2, v56
	s_and_saveexec_b32 s3, s2
	s_cbranch_execz .LBB5_1406
; %bb.1401:                             ;   in Loop: Header=BB5_270 Depth=1
	global_load_b64 v[18:19], v1, s[34:35] offset:24 scope:SCOPE_SYS
	s_wait_loadcnt 0x0
	global_inv scope:SCOPE_SYS
	s_clause 0x1
	global_load_b64 v[6:7], v1, s[34:35] offset:40
	global_load_b64 v[16:17], v1, s[34:35]
	s_mov_b32 s44, exec_lo
	s_wait_loadcnt 0x1
	v_and_b32_e32 v6, v6, v18
	v_and_b32_e32 v7, v7, v19
	s_delay_alu instid0(VALU_DEP_1) | instskip(SKIP_1) | instid1(VALU_DEP_1)
	v_mul_u64_e32 v[6:7], 24, v[6:7]
	s_wait_loadcnt 0x0
	v_add_nc_u64_e32 v[6:7], v[16:17], v[6:7]
	global_load_b64 v[16:17], v[6:7], off scope:SCOPE_SYS
	s_wait_xcnt 0x0
	s_wait_loadcnt 0x0
	global_atomic_cmpswap_b64 v[6:7], v1, v[16:19], s[34:35] offset:24 th:TH_ATOMIC_RETURN scope:SCOPE_SYS
	s_wait_loadcnt 0x0
	global_inv scope:SCOPE_SYS
	s_wait_xcnt 0x0
	v_cmpx_ne_u64_e64 v[6:7], v[18:19]
	s_cbranch_execz .LBB5_1405
; %bb.1402:                             ;   in Loop: Header=BB5_270 Depth=1
	s_mov_b32 s45, 0
.LBB5_1403:                             ;   Parent Loop BB5_270 Depth=1
                                        ; =>  This Inner Loop Header: Depth=2
	s_sleep 1
	s_clause 0x1
	global_load_b64 v[16:17], v1, s[34:35] offset:40
	global_load_b64 v[20:21], v1, s[34:35]
	v_mov_b64_e32 v[18:19], v[6:7]
	s_wait_loadcnt 0x1
	s_delay_alu instid0(VALU_DEP_1) | instskip(SKIP_1) | instid1(VALU_DEP_1)
	v_and_b32_e32 v0, v16, v18
	s_wait_loadcnt 0x0
	v_mad_nc_u64_u32 v[6:7], v0, 24, v[20:21]
	s_delay_alu instid0(VALU_DEP_3) | instskip(NEXT) | instid1(VALU_DEP_1)
	v_and_b32_e32 v0, v17, v19
	v_mad_u32 v7, v0, 24, v7
	global_load_b64 v[16:17], v[6:7], off scope:SCOPE_SYS
	s_wait_xcnt 0x0
	s_wait_loadcnt 0x0
	global_atomic_cmpswap_b64 v[6:7], v1, v[16:19], s[34:35] offset:24 th:TH_ATOMIC_RETURN scope:SCOPE_SYS
	s_wait_loadcnt 0x0
	global_inv scope:SCOPE_SYS
	v_cmp_eq_u64_e32 vcc_lo, v[6:7], v[18:19]
	s_or_b32 s45, vcc_lo, s45
	s_wait_xcnt 0x0
	s_and_not1_b32 exec_lo, exec_lo, s45
	s_cbranch_execnz .LBB5_1403
; %bb.1404:                             ;   in Loop: Header=BB5_270 Depth=1
	s_or_b32 exec_lo, exec_lo, s45
.LBB5_1405:                             ;   in Loop: Header=BB5_270 Depth=1
	s_delay_alu instid0(SALU_CYCLE_1)
	s_or_b32 exec_lo, exec_lo, s44
.LBB5_1406:                             ;   in Loop: Header=BB5_270 Depth=1
	s_delay_alu instid0(SALU_CYCLE_1)
	s_or_b32 exec_lo, exec_lo, s3
	s_clause 0x1
	global_load_b64 v[20:21], v1, s[34:35] offset:40
	global_load_b128 v[16:19], v1, s[34:35]
	v_readfirstlane_b32 s44, v6
	v_readfirstlane_b32 s45, v7
	s_mov_b32 s3, exec_lo
	s_wait_loadcnt 0x1
	v_and_b32_e32 v6, s44, v20
	v_and_b32_e32 v7, s45, v21
	s_delay_alu instid0(VALU_DEP_1) | instskip(SKIP_1) | instid1(VALU_DEP_1)
	v_mul_u64_e32 v[20:21], 24, v[6:7]
	s_wait_loadcnt 0x0
	v_add_nc_u64_e32 v[20:21], v[16:17], v[20:21]
	s_wait_xcnt 0x0
	s_and_saveexec_b32 s46, s2
	s_cbranch_execz .LBB5_1408
; %bb.1407:                             ;   in Loop: Header=BB5_270 Depth=1
	v_mov_b32_e32 v0, s3
	global_store_b128 v[20:21], v[0:3], off offset:8
.LBB5_1408:                             ;   in Loop: Header=BB5_270 Depth=1
	s_wait_xcnt 0x0
	s_or_b32 exec_lo, exec_lo, s46
	v_lshlrev_b64_e32 v[6:7], 12, v[6:7]
	v_mov_b64_e32 v[26:27], s[6:7]
	v_mov_b64_e32 v[24:25], s[4:5]
	v_mov_b32_e32 v5, v1
	s_delay_alu instid0(VALU_DEP_4) | instskip(SKIP_1) | instid1(VALU_DEP_2)
	v_add_nc_u64_e32 v[22:23], v[18:19], v[6:7]
	v_dual_mov_b32 v6, v1 :: v_dual_mov_b32 v7, v1
	v_readfirstlane_b32 s46, v22
	s_delay_alu instid0(VALU_DEP_3)
	v_readfirstlane_b32 s47, v23
	s_clause 0x3
	global_store_b128 v42, v[4:7], s[46:47]
	global_store_b128 v42, v[24:27], s[46:47] offset:16
	global_store_b128 v42, v[24:27], s[46:47] offset:32
	;; [unrolled: 1-line block ×3, first 2 shown]
	s_wait_xcnt 0x0
	s_and_saveexec_b32 s3, s2
	s_cbranch_execz .LBB5_1416
; %bb.1409:                             ;   in Loop: Header=BB5_270 Depth=1
	s_clause 0x1
	global_load_b64 v[26:27], v1, s[34:35] offset:32 scope:SCOPE_SYS
	global_load_b64 v[6:7], v1, s[34:35] offset:40
	s_mov_b32 s46, exec_lo
	v_dual_mov_b32 v24, s44 :: v_dual_mov_b32 v25, s45
	s_wait_loadcnt 0x0
	v_and_b32_e32 v7, s45, v7
	v_and_b32_e32 v6, s44, v6
	s_delay_alu instid0(VALU_DEP_1) | instskip(NEXT) | instid1(VALU_DEP_1)
	v_mul_u64_e32 v[6:7], 24, v[6:7]
	v_add_nc_u64_e32 v[6:7], v[16:17], v[6:7]
	global_store_b64 v[6:7], v[26:27], off
	global_wb scope:SCOPE_SYS
	s_wait_storecnt 0x0
	s_wait_xcnt 0x0
	global_atomic_cmpswap_b64 v[18:19], v1, v[24:27], s[34:35] offset:32 th:TH_ATOMIC_RETURN scope:SCOPE_SYS
	s_wait_loadcnt 0x0
	v_cmpx_ne_u64_e64 v[18:19], v[26:27]
	s_cbranch_execz .LBB5_1412
; %bb.1410:                             ;   in Loop: Header=BB5_270 Depth=1
	s_mov_b32 s47, 0
.LBB5_1411:                             ;   Parent Loop BB5_270 Depth=1
                                        ; =>  This Inner Loop Header: Depth=2
	v_dual_mov_b32 v16, s44 :: v_dual_mov_b32 v17, s45
	s_sleep 1
	global_store_b64 v[6:7], v[18:19], off
	global_wb scope:SCOPE_SYS
	s_wait_storecnt 0x0
	s_wait_xcnt 0x0
	global_atomic_cmpswap_b64 v[16:17], v1, v[16:19], s[34:35] offset:32 th:TH_ATOMIC_RETURN scope:SCOPE_SYS
	s_wait_loadcnt 0x0
	v_cmp_eq_u64_e32 vcc_lo, v[16:17], v[18:19]
	v_mov_b64_e32 v[18:19], v[16:17]
	s_or_b32 s47, vcc_lo, s47
	s_delay_alu instid0(SALU_CYCLE_1)
	s_and_not1_b32 exec_lo, exec_lo, s47
	s_cbranch_execnz .LBB5_1411
.LBB5_1412:                             ;   in Loop: Header=BB5_270 Depth=1
	s_or_b32 exec_lo, exec_lo, s46
	global_load_b64 v[6:7], v1, s[34:35] offset:16
	s_mov_b32 s47, exec_lo
	s_mov_b32 s46, exec_lo
	v_mbcnt_lo_u32_b32 v0, s47, 0
	s_wait_xcnt 0x0
	s_delay_alu instid0(VALU_DEP_1)
	v_cmpx_eq_u32_e32 0, v0
	s_cbranch_execz .LBB5_1414
; %bb.1413:                             ;   in Loop: Header=BB5_270 Depth=1
	s_bcnt1_i32_b32 s47, s47
	s_delay_alu instid0(SALU_CYCLE_1)
	v_mov_b32_e32 v0, s47
	global_wb scope:SCOPE_SYS
	s_wait_loadcnt 0x0
	s_wait_storecnt 0x0
	global_atomic_add_u64 v[6:7], v[0:1], off offset:8 scope:SCOPE_SYS
.LBB5_1414:                             ;   in Loop: Header=BB5_270 Depth=1
	s_wait_xcnt 0x0
	s_or_b32 exec_lo, exec_lo, s46
	s_wait_loadcnt 0x0
	global_load_b64 v[16:17], v[6:7], off offset:16
	s_wait_loadcnt 0x0
	v_cmp_eq_u64_e32 vcc_lo, 0, v[16:17]
	s_cbranch_vccnz .LBB5_1416
; %bb.1415:                             ;   in Loop: Header=BB5_270 Depth=1
	global_load_b32 v0, v[6:7], off offset:24
	s_wait_loadcnt 0x0
	v_readfirstlane_b32 s46, v0
	global_wb scope:SCOPE_SYS
	s_wait_storecnt 0x0
	s_wait_xcnt 0x0
	global_store_b64 v[16:17], v[0:1], off scope:SCOPE_SYS
	s_and_b32 m0, s46, 0xffffff
	s_sendmsg sendmsg(MSG_INTERRUPT)
.LBB5_1416:                             ;   in Loop: Header=BB5_270 Depth=1
	s_wait_xcnt 0x0
	s_or_b32 exec_lo, exec_lo, s3
	v_mov_b32_e32 v43, v1
	s_delay_alu instid0(VALU_DEP_1)
	v_add_nc_u64_e32 v[6:7], v[22:23], v[42:43]
	s_branch .LBB5_1420
.LBB5_1417:                             ;   in Loop: Header=BB5_1420 Depth=2
	s_wait_xcnt 0x0
	s_or_b32 exec_lo, exec_lo, s3
	s_delay_alu instid0(VALU_DEP_1)
	v_readfirstlane_b32 s3, v0
	s_cmp_eq_u32 s3, 0
	s_cbranch_scc1 .LBB5_1419
; %bb.1418:                             ;   in Loop: Header=BB5_1420 Depth=2
	s_sleep 1
	s_cbranch_execnz .LBB5_1420
	s_branch .LBB5_1422
.LBB5_1419:                             ;   in Loop: Header=BB5_270 Depth=1
	s_branch .LBB5_1422
.LBB5_1420:                             ;   Parent Loop BB5_270 Depth=1
                                        ; =>  This Inner Loop Header: Depth=2
	v_mov_b32_e32 v0, 1
	s_and_saveexec_b32 s3, s2
	s_cbranch_execz .LBB5_1417
; %bb.1421:                             ;   in Loop: Header=BB5_1420 Depth=2
	global_load_b32 v0, v[20:21], off offset:20 scope:SCOPE_SYS
	s_wait_loadcnt 0x0
	global_inv scope:SCOPE_SYS
	v_and_b32_e32 v0, 1, v0
	s_branch .LBB5_1417
.LBB5_1422:                             ;   in Loop: Header=BB5_270 Depth=1
	global_load_b64 v[16:17], v[6:7], off
	s_wait_xcnt 0x0
	s_and_saveexec_b32 s46, s2
	s_cbranch_execz .LBB5_1426
; %bb.1423:                             ;   in Loop: Header=BB5_270 Depth=1
	s_clause 0x2
	global_load_b64 v[6:7], v1, s[34:35] offset:40
	global_load_b64 v[22:23], v1, s[34:35] offset:24 scope:SCOPE_SYS
	global_load_b64 v[18:19], v1, s[34:35]
	s_wait_loadcnt 0x2
	v_readfirstlane_b32 s48, v6
	v_readfirstlane_b32 s49, v7
	s_add_nc_u64 s[2:3], s[48:49], 1
	s_delay_alu instid0(SALU_CYCLE_1) | instskip(NEXT) | instid1(SALU_CYCLE_1)
	s_add_nc_u64 s[44:45], s[2:3], s[44:45]
	s_cmp_eq_u64 s[44:45], 0
	s_cselect_b32 s3, s3, s45
	s_cselect_b32 s2, s2, s44
	s_delay_alu instid0(SALU_CYCLE_1) | instskip(SKIP_1) | instid1(SALU_CYCLE_1)
	v_dual_mov_b32 v21, s3 :: v_dual_mov_b32 v20, s2
	s_and_b64 s[44:45], s[2:3], s[48:49]
	s_mul_u64 s[44:45], s[44:45], 24
	s_wait_loadcnt 0x0
	v_add_nc_u64_e32 v[6:7], s[44:45], v[18:19]
	global_store_b64 v[6:7], v[22:23], off
	global_wb scope:SCOPE_SYS
	s_wait_storecnt 0x0
	s_wait_xcnt 0x0
	global_atomic_cmpswap_b64 v[20:21], v1, v[20:23], s[34:35] offset:24 th:TH_ATOMIC_RETURN scope:SCOPE_SYS
	s_wait_loadcnt 0x0
	v_cmp_ne_u64_e32 vcc_lo, v[20:21], v[22:23]
	s_and_b32 exec_lo, exec_lo, vcc_lo
	s_cbranch_execz .LBB5_1426
; %bb.1424:                             ;   in Loop: Header=BB5_270 Depth=1
	s_mov_b32 s44, 0
.LBB5_1425:                             ;   Parent Loop BB5_270 Depth=1
                                        ; =>  This Inner Loop Header: Depth=2
	v_dual_mov_b32 v18, s2 :: v_dual_mov_b32 v19, s3
	s_sleep 1
	global_store_b64 v[6:7], v[20:21], off
	global_wb scope:SCOPE_SYS
	s_wait_storecnt 0x0
	s_wait_xcnt 0x0
	global_atomic_cmpswap_b64 v[18:19], v1, v[18:21], s[34:35] offset:24 th:TH_ATOMIC_RETURN scope:SCOPE_SYS
	s_wait_loadcnt 0x0
	v_cmp_eq_u64_e32 vcc_lo, v[18:19], v[20:21]
	v_mov_b64_e32 v[20:21], v[18:19]
	s_or_b32 s44, vcc_lo, s44
	s_delay_alu instid0(SALU_CYCLE_1)
	s_and_not1_b32 exec_lo, exec_lo, s44
	s_cbranch_execnz .LBB5_1425
.LBB5_1426:                             ;   in Loop: Header=BB5_270 Depth=1
	s_or_b32 exec_lo, exec_lo, s46
	s_delay_alu instid0(SALU_CYCLE_1)
	s_and_b32 vcc_lo, exec_lo, s59
	s_cbranch_vccz .LBB5_1505
; %bb.1427:                             ;   in Loop: Header=BB5_270 Depth=1
	s_wait_loadcnt 0x0
	v_dual_mov_b32 v19, v17 :: v_dual_bitop2_b32 v18, -3, v16 bitop3:0x40
	s_mov_b64 s[44:45], 2
	s_mov_b64 s[46:47], s[14:15]
	s_branch .LBB5_1429
.LBB5_1428:                             ;   in Loop: Header=BB5_1429 Depth=2
	s_or_b32 exec_lo, exec_lo, s52
	s_sub_nc_u64 s[44:45], s[44:45], s[48:49]
	s_add_nc_u64 s[46:47], s[46:47], s[48:49]
	s_cmp_lg_u64 s[44:45], 0
	s_cbranch_scc0 .LBB5_1504
.LBB5_1429:                             ;   Parent Loop BB5_270 Depth=1
                                        ; =>  This Loop Header: Depth=2
                                        ;       Child Loop BB5_1432 Depth 3
                                        ;       Child Loop BB5_1439 Depth 3
	;; [unrolled: 1-line block ×11, first 2 shown]
	v_min_u64 v[6:7], s[44:45], 56
	v_cmp_gt_u64_e64 s2, s[44:45], 7
	s_and_b32 vcc_lo, exec_lo, s2
	v_readfirstlane_b32 s48, v6
	v_readfirstlane_b32 s49, v7
	s_cbranch_vccnz .LBB5_1434
; %bb.1430:                             ;   in Loop: Header=BB5_1429 Depth=2
	s_wait_loadcnt 0x0
	v_mov_b64_e32 v[20:21], 0
	s_cmp_eq_u64 s[44:45], 0
	s_cbranch_scc1 .LBB5_1433
; %bb.1431:                             ;   in Loop: Header=BB5_1429 Depth=2
	s_mov_b64 s[2:3], 0
	s_mov_b64 s[50:51], 0
.LBB5_1432:                             ;   Parent Loop BB5_270 Depth=1
                                        ;     Parent Loop BB5_1429 Depth=2
                                        ; =>    This Inner Loop Header: Depth=3
	s_wait_xcnt 0x0
	s_add_nc_u64 s[52:53], s[46:47], s[50:51]
	s_add_nc_u64 s[50:51], s[50:51], 1
	global_load_u8 v0, v1, s[52:53]
	s_cmp_lg_u32 s48, s50
	s_wait_loadcnt 0x0
	v_and_b32_e32 v0, 0xffff, v0
	s_delay_alu instid0(VALU_DEP_1) | instskip(SKIP_1) | instid1(VALU_DEP_1)
	v_lshlrev_b64_e32 v[6:7], s2, v[0:1]
	s_add_nc_u64 s[2:3], s[2:3], 8
	v_or_b32_e32 v20, v6, v20
	s_delay_alu instid0(VALU_DEP_2)
	v_or_b32_e32 v21, v7, v21
	s_cbranch_scc1 .LBB5_1432
.LBB5_1433:                             ;   in Loop: Header=BB5_1429 Depth=2
	s_mov_b64 s[2:3], s[46:47]
	s_mov_b32 s54, 0
	s_cbranch_execz .LBB5_1435
	s_branch .LBB5_1436
.LBB5_1434:                             ;   in Loop: Header=BB5_1429 Depth=2
	s_add_nc_u64 s[2:3], s[46:47], 8
	s_mov_b32 s54, 0
.LBB5_1435:                             ;   in Loop: Header=BB5_1429 Depth=2
	s_wait_loadcnt 0x0
	global_load_b64 v[20:21], v1, s[46:47]
	s_add_co_i32 s54, s48, -8
.LBB5_1436:                             ;   in Loop: Header=BB5_1429 Depth=2
	s_delay_alu instid0(SALU_CYCLE_1)
	s_cmp_gt_u32 s54, 7
	s_cbranch_scc1 .LBB5_1441
; %bb.1437:                             ;   in Loop: Header=BB5_1429 Depth=2
	v_mov_b64_e32 v[22:23], 0
	s_cmp_eq_u32 s54, 0
	s_cbranch_scc1 .LBB5_1440
; %bb.1438:                             ;   in Loop: Header=BB5_1429 Depth=2
	s_mov_b64 s[50:51], 0
	s_wait_xcnt 0x0
	s_mov_b64 s[52:53], 0
.LBB5_1439:                             ;   Parent Loop BB5_270 Depth=1
                                        ;     Parent Loop BB5_1429 Depth=2
                                        ; =>    This Inner Loop Header: Depth=3
	s_wait_xcnt 0x0
	s_add_nc_u64 s[60:61], s[2:3], s[52:53]
	s_add_nc_u64 s[52:53], s[52:53], 1
	global_load_u8 v0, v1, s[60:61]
	s_cmp_lg_u32 s54, s52
	s_wait_loadcnt 0x0
	v_and_b32_e32 v0, 0xffff, v0
	s_delay_alu instid0(VALU_DEP_1) | instskip(SKIP_1) | instid1(VALU_DEP_1)
	v_lshlrev_b64_e32 v[6:7], s50, v[0:1]
	s_add_nc_u64 s[50:51], s[50:51], 8
	v_or_b32_e32 v22, v6, v22
	s_delay_alu instid0(VALU_DEP_2)
	v_or_b32_e32 v23, v7, v23
	s_cbranch_scc1 .LBB5_1439
.LBB5_1440:                             ;   in Loop: Header=BB5_1429 Depth=2
	s_wait_xcnt 0x0
	s_mov_b64 s[50:51], s[2:3]
	s_mov_b32 s55, 0
	s_cbranch_execz .LBB5_1442
	s_branch .LBB5_1443
.LBB5_1441:                             ;   in Loop: Header=BB5_1429 Depth=2
	s_add_nc_u64 s[50:51], s[2:3], 8
	s_wait_xcnt 0x0
                                        ; implicit-def: $vgpr22_vgpr23
	s_mov_b32 s55, 0
.LBB5_1442:                             ;   in Loop: Header=BB5_1429 Depth=2
	global_load_b64 v[22:23], v1, s[2:3]
	s_add_co_i32 s55, s54, -8
.LBB5_1443:                             ;   in Loop: Header=BB5_1429 Depth=2
	s_delay_alu instid0(SALU_CYCLE_1)
	s_cmp_gt_u32 s55, 7
	s_cbranch_scc1 .LBB5_1448
; %bb.1444:                             ;   in Loop: Header=BB5_1429 Depth=2
	v_mov_b64_e32 v[24:25], 0
	s_cmp_eq_u32 s55, 0
	s_cbranch_scc1 .LBB5_1447
; %bb.1445:                             ;   in Loop: Header=BB5_1429 Depth=2
	s_wait_xcnt 0x0
	s_mov_b64 s[2:3], 0
	s_mov_b64 s[52:53], 0
.LBB5_1446:                             ;   Parent Loop BB5_270 Depth=1
                                        ;     Parent Loop BB5_1429 Depth=2
                                        ; =>    This Inner Loop Header: Depth=3
	s_wait_xcnt 0x0
	s_add_nc_u64 s[60:61], s[50:51], s[52:53]
	s_add_nc_u64 s[52:53], s[52:53], 1
	global_load_u8 v0, v1, s[60:61]
	s_cmp_lg_u32 s55, s52
	s_wait_loadcnt 0x0
	v_and_b32_e32 v0, 0xffff, v0
	s_delay_alu instid0(VALU_DEP_1) | instskip(SKIP_1) | instid1(VALU_DEP_1)
	v_lshlrev_b64_e32 v[6:7], s2, v[0:1]
	s_add_nc_u64 s[2:3], s[2:3], 8
	v_or_b32_e32 v24, v6, v24
	s_delay_alu instid0(VALU_DEP_2)
	v_or_b32_e32 v25, v7, v25
	s_cbranch_scc1 .LBB5_1446
.LBB5_1447:                             ;   in Loop: Header=BB5_1429 Depth=2
	s_wait_xcnt 0x0
	s_mov_b64 s[2:3], s[50:51]
	s_mov_b32 s54, 0
	s_cbranch_execz .LBB5_1449
	s_branch .LBB5_1450
.LBB5_1448:                             ;   in Loop: Header=BB5_1429 Depth=2
	s_wait_xcnt 0x0
	s_add_nc_u64 s[2:3], s[50:51], 8
	s_mov_b32 s54, 0
.LBB5_1449:                             ;   in Loop: Header=BB5_1429 Depth=2
	global_load_b64 v[24:25], v1, s[50:51]
	s_add_co_i32 s54, s55, -8
.LBB5_1450:                             ;   in Loop: Header=BB5_1429 Depth=2
	s_delay_alu instid0(SALU_CYCLE_1)
	s_cmp_gt_u32 s54, 7
	s_cbranch_scc1 .LBB5_1455
; %bb.1451:                             ;   in Loop: Header=BB5_1429 Depth=2
	v_mov_b64_e32 v[26:27], 0
	s_cmp_eq_u32 s54, 0
	s_cbranch_scc1 .LBB5_1454
; %bb.1452:                             ;   in Loop: Header=BB5_1429 Depth=2
	s_wait_xcnt 0x0
	s_mov_b64 s[50:51], 0
	s_mov_b64 s[52:53], 0
.LBB5_1453:                             ;   Parent Loop BB5_270 Depth=1
                                        ;     Parent Loop BB5_1429 Depth=2
                                        ; =>    This Inner Loop Header: Depth=3
	s_wait_xcnt 0x0
	s_add_nc_u64 s[60:61], s[2:3], s[52:53]
	s_add_nc_u64 s[52:53], s[52:53], 1
	global_load_u8 v0, v1, s[60:61]
	s_cmp_lg_u32 s54, s52
	s_wait_loadcnt 0x0
	v_and_b32_e32 v0, 0xffff, v0
	s_delay_alu instid0(VALU_DEP_1) | instskip(SKIP_1) | instid1(VALU_DEP_1)
	v_lshlrev_b64_e32 v[6:7], s50, v[0:1]
	s_add_nc_u64 s[50:51], s[50:51], 8
	v_or_b32_e32 v26, v6, v26
	s_delay_alu instid0(VALU_DEP_2)
	v_or_b32_e32 v27, v7, v27
	s_cbranch_scc1 .LBB5_1453
.LBB5_1454:                             ;   in Loop: Header=BB5_1429 Depth=2
	s_wait_xcnt 0x0
	s_mov_b64 s[50:51], s[2:3]
	s_mov_b32 s55, 0
	s_cbranch_execz .LBB5_1456
	s_branch .LBB5_1457
.LBB5_1455:                             ;   in Loop: Header=BB5_1429 Depth=2
	s_wait_xcnt 0x0
	s_add_nc_u64 s[50:51], s[2:3], 8
                                        ; implicit-def: $vgpr26_vgpr27
	s_mov_b32 s55, 0
.LBB5_1456:                             ;   in Loop: Header=BB5_1429 Depth=2
	global_load_b64 v[26:27], v1, s[2:3]
	s_add_co_i32 s55, s54, -8
.LBB5_1457:                             ;   in Loop: Header=BB5_1429 Depth=2
	s_delay_alu instid0(SALU_CYCLE_1)
	s_cmp_gt_u32 s55, 7
	s_cbranch_scc1 .LBB5_1462
; %bb.1458:                             ;   in Loop: Header=BB5_1429 Depth=2
	v_mov_b64_e32 v[28:29], 0
	s_cmp_eq_u32 s55, 0
	s_cbranch_scc1 .LBB5_1461
; %bb.1459:                             ;   in Loop: Header=BB5_1429 Depth=2
	s_wait_xcnt 0x0
	s_mov_b64 s[2:3], 0
	s_mov_b64 s[52:53], 0
.LBB5_1460:                             ;   Parent Loop BB5_270 Depth=1
                                        ;     Parent Loop BB5_1429 Depth=2
                                        ; =>    This Inner Loop Header: Depth=3
	s_wait_xcnt 0x0
	s_add_nc_u64 s[60:61], s[50:51], s[52:53]
	s_add_nc_u64 s[52:53], s[52:53], 1
	global_load_u8 v0, v1, s[60:61]
	s_cmp_lg_u32 s55, s52
	s_wait_loadcnt 0x0
	v_and_b32_e32 v0, 0xffff, v0
	s_delay_alu instid0(VALU_DEP_1) | instskip(SKIP_1) | instid1(VALU_DEP_1)
	v_lshlrev_b64_e32 v[6:7], s2, v[0:1]
	s_add_nc_u64 s[2:3], s[2:3], 8
	v_or_b32_e32 v28, v6, v28
	s_delay_alu instid0(VALU_DEP_2)
	v_or_b32_e32 v29, v7, v29
	s_cbranch_scc1 .LBB5_1460
.LBB5_1461:                             ;   in Loop: Header=BB5_1429 Depth=2
	s_wait_xcnt 0x0
	s_mov_b64 s[2:3], s[50:51]
	s_mov_b32 s54, 0
	s_cbranch_execz .LBB5_1463
	s_branch .LBB5_1464
.LBB5_1462:                             ;   in Loop: Header=BB5_1429 Depth=2
	s_wait_xcnt 0x0
	s_add_nc_u64 s[2:3], s[50:51], 8
	s_mov_b32 s54, 0
.LBB5_1463:                             ;   in Loop: Header=BB5_1429 Depth=2
	global_load_b64 v[28:29], v1, s[50:51]
	s_add_co_i32 s54, s55, -8
.LBB5_1464:                             ;   in Loop: Header=BB5_1429 Depth=2
	s_delay_alu instid0(SALU_CYCLE_1)
	s_cmp_gt_u32 s54, 7
	s_cbranch_scc1 .LBB5_1469
; %bb.1465:                             ;   in Loop: Header=BB5_1429 Depth=2
	v_mov_b64_e32 v[30:31], 0
	s_cmp_eq_u32 s54, 0
	s_cbranch_scc1 .LBB5_1468
; %bb.1466:                             ;   in Loop: Header=BB5_1429 Depth=2
	s_wait_xcnt 0x0
	s_mov_b64 s[50:51], 0
	s_mov_b64 s[52:53], 0
.LBB5_1467:                             ;   Parent Loop BB5_270 Depth=1
                                        ;     Parent Loop BB5_1429 Depth=2
                                        ; =>    This Inner Loop Header: Depth=3
	s_wait_xcnt 0x0
	s_add_nc_u64 s[60:61], s[2:3], s[52:53]
	s_add_nc_u64 s[52:53], s[52:53], 1
	global_load_u8 v0, v1, s[60:61]
	s_cmp_lg_u32 s54, s52
	s_wait_loadcnt 0x0
	v_and_b32_e32 v0, 0xffff, v0
	s_delay_alu instid0(VALU_DEP_1) | instskip(SKIP_1) | instid1(VALU_DEP_1)
	v_lshlrev_b64_e32 v[6:7], s50, v[0:1]
	s_add_nc_u64 s[50:51], s[50:51], 8
	v_or_b32_e32 v30, v6, v30
	s_delay_alu instid0(VALU_DEP_2)
	v_or_b32_e32 v31, v7, v31
	s_cbranch_scc1 .LBB5_1467
.LBB5_1468:                             ;   in Loop: Header=BB5_1429 Depth=2
	s_wait_xcnt 0x0
	s_mov_b64 s[50:51], s[2:3]
	s_mov_b32 s55, 0
	s_cbranch_execz .LBB5_1470
	s_branch .LBB5_1471
.LBB5_1469:                             ;   in Loop: Header=BB5_1429 Depth=2
	s_wait_xcnt 0x0
	s_add_nc_u64 s[50:51], s[2:3], 8
                                        ; implicit-def: $vgpr30_vgpr31
	s_mov_b32 s55, 0
.LBB5_1470:                             ;   in Loop: Header=BB5_1429 Depth=2
	global_load_b64 v[30:31], v1, s[2:3]
	s_add_co_i32 s55, s54, -8
.LBB5_1471:                             ;   in Loop: Header=BB5_1429 Depth=2
	s_delay_alu instid0(SALU_CYCLE_1)
	s_cmp_gt_u32 s55, 7
	s_cbranch_scc1 .LBB5_1476
; %bb.1472:                             ;   in Loop: Header=BB5_1429 Depth=2
	v_mov_b64_e32 v[32:33], 0
	s_cmp_eq_u32 s55, 0
	s_cbranch_scc1 .LBB5_1475
; %bb.1473:                             ;   in Loop: Header=BB5_1429 Depth=2
	s_wait_xcnt 0x0
	s_mov_b64 s[2:3], 0
	s_mov_b64 s[52:53], s[50:51]
.LBB5_1474:                             ;   Parent Loop BB5_270 Depth=1
                                        ;     Parent Loop BB5_1429 Depth=2
                                        ; =>    This Inner Loop Header: Depth=3
	global_load_u8 v0, v1, s[52:53]
	s_add_co_i32 s55, s55, -1
	s_wait_xcnt 0x0
	s_add_nc_u64 s[52:53], s[52:53], 1
	s_cmp_lg_u32 s55, 0
	s_wait_loadcnt 0x0
	v_and_b32_e32 v0, 0xffff, v0
	s_delay_alu instid0(VALU_DEP_1) | instskip(SKIP_1) | instid1(VALU_DEP_1)
	v_lshlrev_b64_e32 v[6:7], s2, v[0:1]
	s_add_nc_u64 s[2:3], s[2:3], 8
	v_or_b32_e32 v32, v6, v32
	s_delay_alu instid0(VALU_DEP_2)
	v_or_b32_e32 v33, v7, v33
	s_cbranch_scc1 .LBB5_1474
.LBB5_1475:                             ;   in Loop: Header=BB5_1429 Depth=2
	s_wait_xcnt 0x0
	s_cbranch_execz .LBB5_1477
	s_branch .LBB5_1478
.LBB5_1476:                             ;   in Loop: Header=BB5_1429 Depth=2
	s_wait_xcnt 0x0
.LBB5_1477:                             ;   in Loop: Header=BB5_1429 Depth=2
	global_load_b64 v[32:33], v1, s[50:51]
.LBB5_1478:                             ;   in Loop: Header=BB5_1429 Depth=2
	v_readfirstlane_b32 s2, v56
	v_mov_b64_e32 v[6:7], 0
	s_delay_alu instid0(VALU_DEP_2)
	v_cmp_eq_u32_e64 s2, s2, v56
	s_wait_xcnt 0x0
	s_and_saveexec_b32 s3, s2
	s_cbranch_execz .LBB5_1484
; %bb.1479:                             ;   in Loop: Header=BB5_1429 Depth=2
	global_load_b64 v[36:37], v1, s[34:35] offset:24 scope:SCOPE_SYS
	s_wait_loadcnt 0x0
	global_inv scope:SCOPE_SYS
	s_clause 0x1
	global_load_b64 v[6:7], v1, s[34:35] offset:40
	global_load_b64 v[34:35], v1, s[34:35]
	s_mov_b32 s50, exec_lo
	s_wait_loadcnt 0x1
	v_and_b32_e32 v6, v6, v36
	v_and_b32_e32 v7, v7, v37
	s_delay_alu instid0(VALU_DEP_1) | instskip(SKIP_1) | instid1(VALU_DEP_1)
	v_mul_u64_e32 v[6:7], 24, v[6:7]
	s_wait_loadcnt 0x0
	v_add_nc_u64_e32 v[6:7], v[34:35], v[6:7]
	global_load_b64 v[34:35], v[6:7], off scope:SCOPE_SYS
	s_wait_xcnt 0x0
	s_wait_loadcnt 0x0
	global_atomic_cmpswap_b64 v[6:7], v1, v[34:37], s[34:35] offset:24 th:TH_ATOMIC_RETURN scope:SCOPE_SYS
	s_wait_loadcnt 0x0
	global_inv scope:SCOPE_SYS
	s_wait_xcnt 0x0
	v_cmpx_ne_u64_e64 v[6:7], v[36:37]
	s_cbranch_execz .LBB5_1483
; %bb.1480:                             ;   in Loop: Header=BB5_1429 Depth=2
	s_mov_b32 s51, 0
.LBB5_1481:                             ;   Parent Loop BB5_270 Depth=1
                                        ;     Parent Loop BB5_1429 Depth=2
                                        ; =>    This Inner Loop Header: Depth=3
	s_sleep 1
	s_clause 0x1
	global_load_b64 v[34:35], v1, s[34:35] offset:40
	global_load_b64 v[38:39], v1, s[34:35]
	v_mov_b64_e32 v[36:37], v[6:7]
	s_wait_loadcnt 0x1
	s_delay_alu instid0(VALU_DEP_1) | instskip(SKIP_1) | instid1(VALU_DEP_1)
	v_and_b32_e32 v0, v34, v36
	s_wait_loadcnt 0x0
	v_mad_nc_u64_u32 v[6:7], v0, 24, v[38:39]
	s_delay_alu instid0(VALU_DEP_3) | instskip(NEXT) | instid1(VALU_DEP_1)
	v_and_b32_e32 v0, v35, v37
	v_mad_u32 v7, v0, 24, v7
	global_load_b64 v[34:35], v[6:7], off scope:SCOPE_SYS
	s_wait_xcnt 0x0
	s_wait_loadcnt 0x0
	global_atomic_cmpswap_b64 v[6:7], v1, v[34:37], s[34:35] offset:24 th:TH_ATOMIC_RETURN scope:SCOPE_SYS
	s_wait_loadcnt 0x0
	global_inv scope:SCOPE_SYS
	v_cmp_eq_u64_e32 vcc_lo, v[6:7], v[36:37]
	s_or_b32 s51, vcc_lo, s51
	s_wait_xcnt 0x0
	s_and_not1_b32 exec_lo, exec_lo, s51
	s_cbranch_execnz .LBB5_1481
; %bb.1482:                             ;   in Loop: Header=BB5_1429 Depth=2
	s_or_b32 exec_lo, exec_lo, s51
.LBB5_1483:                             ;   in Loop: Header=BB5_1429 Depth=2
	s_delay_alu instid0(SALU_CYCLE_1)
	s_or_b32 exec_lo, exec_lo, s50
.LBB5_1484:                             ;   in Loop: Header=BB5_1429 Depth=2
	s_delay_alu instid0(SALU_CYCLE_1)
	s_or_b32 exec_lo, exec_lo, s3
	s_clause 0x1
	global_load_b64 v[38:39], v1, s[34:35] offset:40
	global_load_b128 v[34:37], v1, s[34:35]
	v_readfirstlane_b32 s50, v6
	v_readfirstlane_b32 s51, v7
	s_mov_b32 s3, exec_lo
	s_wait_loadcnt 0x1
	v_and_b32_e32 v38, s50, v38
	v_and_b32_e32 v39, s51, v39
	s_delay_alu instid0(VALU_DEP_1) | instskip(SKIP_1) | instid1(VALU_DEP_1)
	v_mul_u64_e32 v[6:7], 24, v[38:39]
	s_wait_loadcnt 0x0
	v_add_nc_u64_e32 v[6:7], v[34:35], v[6:7]
	s_wait_xcnt 0x0
	s_and_saveexec_b32 s52, s2
	s_cbranch_execz .LBB5_1486
; %bb.1485:                             ;   in Loop: Header=BB5_1429 Depth=2
	v_mov_b32_e32 v0, s3
	global_store_b128 v[6:7], v[0:3], off offset:8
.LBB5_1486:                             ;   in Loop: Header=BB5_1429 Depth=2
	s_wait_xcnt 0x0
	s_or_b32 exec_lo, exec_lo, s52
	v_cmp_gt_u64_e64 s3, s[44:45], 56
	v_lshlrev_b64_e32 v[38:39], 12, v[38:39]
	v_and_b32_e32 v0, 0xffffff1f, v18
	s_and_b32 s3, s3, exec_lo
	s_delay_alu instid0(VALU_DEP_2) | instskip(SKIP_4) | instid1(VALU_DEP_2)
	v_add_nc_u64_e32 v[36:37], v[36:37], v[38:39]
	s_cselect_b32 s3, 0, 2
	s_lshl_b32 s52, s48, 2
	v_or_b32_e32 v0, s3, v0
	s_add_co_i32 s3, s52, 28
	v_readfirstlane_b32 s52, v36
	s_delay_alu instid0(VALU_DEP_3) | instskip(NEXT) | instid1(VALU_DEP_3)
	v_readfirstlane_b32 s53, v37
	v_and_or_b32 v18, 0x1e0, s3, v0
	s_clause 0x3
	global_store_b128 v42, v[18:21], s[52:53]
	global_store_b128 v42, v[22:25], s[52:53] offset:16
	global_store_b128 v42, v[26:29], s[52:53] offset:32
	;; [unrolled: 1-line block ×3, first 2 shown]
	s_wait_xcnt 0x0
	s_and_saveexec_b32 s3, s2
	s_cbranch_execz .LBB5_1494
; %bb.1487:                             ;   in Loop: Header=BB5_1429 Depth=2
	s_clause 0x1
	global_load_b64 v[26:27], v1, s[34:35] offset:32 scope:SCOPE_SYS
	global_load_b64 v[18:19], v1, s[34:35] offset:40
	s_mov_b32 s52, exec_lo
	v_dual_mov_b32 v24, s50 :: v_dual_mov_b32 v25, s51
	s_wait_loadcnt 0x0
	v_and_b32_e32 v19, s51, v19
	v_and_b32_e32 v18, s50, v18
	s_delay_alu instid0(VALU_DEP_1) | instskip(NEXT) | instid1(VALU_DEP_1)
	v_mul_u64_e32 v[18:19], 24, v[18:19]
	v_add_nc_u64_e32 v[22:23], v[34:35], v[18:19]
	global_store_b64 v[22:23], v[26:27], off
	global_wb scope:SCOPE_SYS
	s_wait_storecnt 0x0
	s_wait_xcnt 0x0
	global_atomic_cmpswap_b64 v[20:21], v1, v[24:27], s[34:35] offset:32 th:TH_ATOMIC_RETURN scope:SCOPE_SYS
	s_wait_loadcnt 0x0
	v_cmpx_ne_u64_e64 v[20:21], v[26:27]
	s_cbranch_execz .LBB5_1490
; %bb.1488:                             ;   in Loop: Header=BB5_1429 Depth=2
	s_mov_b32 s53, 0
.LBB5_1489:                             ;   Parent Loop BB5_270 Depth=1
                                        ;     Parent Loop BB5_1429 Depth=2
                                        ; =>    This Inner Loop Header: Depth=3
	v_dual_mov_b32 v18, s50 :: v_dual_mov_b32 v19, s51
	s_sleep 1
	global_store_b64 v[22:23], v[20:21], off
	global_wb scope:SCOPE_SYS
	s_wait_storecnt 0x0
	s_wait_xcnt 0x0
	global_atomic_cmpswap_b64 v[18:19], v1, v[18:21], s[34:35] offset:32 th:TH_ATOMIC_RETURN scope:SCOPE_SYS
	s_wait_loadcnt 0x0
	v_cmp_eq_u64_e32 vcc_lo, v[18:19], v[20:21]
	v_mov_b64_e32 v[20:21], v[18:19]
	s_or_b32 s53, vcc_lo, s53
	s_delay_alu instid0(SALU_CYCLE_1)
	s_and_not1_b32 exec_lo, exec_lo, s53
	s_cbranch_execnz .LBB5_1489
.LBB5_1490:                             ;   in Loop: Header=BB5_1429 Depth=2
	s_or_b32 exec_lo, exec_lo, s52
	global_load_b64 v[18:19], v1, s[34:35] offset:16
	s_mov_b32 s53, exec_lo
	s_mov_b32 s52, exec_lo
	v_mbcnt_lo_u32_b32 v0, s53, 0
	s_wait_xcnt 0x0
	s_delay_alu instid0(VALU_DEP_1)
	v_cmpx_eq_u32_e32 0, v0
	s_cbranch_execz .LBB5_1492
; %bb.1491:                             ;   in Loop: Header=BB5_1429 Depth=2
	s_bcnt1_i32_b32 s53, s53
	s_delay_alu instid0(SALU_CYCLE_1)
	v_mov_b32_e32 v0, s53
	global_wb scope:SCOPE_SYS
	s_wait_loadcnt 0x0
	s_wait_storecnt 0x0
	global_atomic_add_u64 v[18:19], v[0:1], off offset:8 scope:SCOPE_SYS
.LBB5_1492:                             ;   in Loop: Header=BB5_1429 Depth=2
	s_wait_xcnt 0x0
	s_or_b32 exec_lo, exec_lo, s52
	s_wait_loadcnt 0x0
	global_load_b64 v[20:21], v[18:19], off offset:16
	s_wait_loadcnt 0x0
	v_cmp_eq_u64_e32 vcc_lo, 0, v[20:21]
	s_cbranch_vccnz .LBB5_1494
; %bb.1493:                             ;   in Loop: Header=BB5_1429 Depth=2
	global_load_b32 v0, v[18:19], off offset:24
	s_wait_loadcnt 0x0
	v_readfirstlane_b32 s52, v0
	global_wb scope:SCOPE_SYS
	s_wait_storecnt 0x0
	s_wait_xcnt 0x0
	global_store_b64 v[20:21], v[0:1], off scope:SCOPE_SYS
	s_and_b32 m0, s52, 0xffffff
	s_sendmsg sendmsg(MSG_INTERRUPT)
.LBB5_1494:                             ;   in Loop: Header=BB5_1429 Depth=2
	s_wait_xcnt 0x0
	s_or_b32 exec_lo, exec_lo, s3
	v_mov_b32_e32 v43, v1
	s_delay_alu instid0(VALU_DEP_1)
	v_add_nc_u64_e32 v[18:19], v[36:37], v[42:43]
	s_branch .LBB5_1498
.LBB5_1495:                             ;   in Loop: Header=BB5_1498 Depth=3
	s_wait_xcnt 0x0
	s_or_b32 exec_lo, exec_lo, s3
	s_delay_alu instid0(VALU_DEP_1)
	v_readfirstlane_b32 s3, v0
	s_cmp_eq_u32 s3, 0
	s_cbranch_scc1 .LBB5_1497
; %bb.1496:                             ;   in Loop: Header=BB5_1498 Depth=3
	s_sleep 1
	s_cbranch_execnz .LBB5_1498
	s_branch .LBB5_1500
.LBB5_1497:                             ;   in Loop: Header=BB5_1429 Depth=2
	s_branch .LBB5_1500
.LBB5_1498:                             ;   Parent Loop BB5_270 Depth=1
                                        ;     Parent Loop BB5_1429 Depth=2
                                        ; =>    This Inner Loop Header: Depth=3
	v_mov_b32_e32 v0, 1
	s_and_saveexec_b32 s3, s2
	s_cbranch_execz .LBB5_1495
; %bb.1499:                             ;   in Loop: Header=BB5_1498 Depth=3
	global_load_b32 v0, v[6:7], off offset:20 scope:SCOPE_SYS
	s_wait_loadcnt 0x0
	global_inv scope:SCOPE_SYS
	v_and_b32_e32 v0, 1, v0
	s_branch .LBB5_1495
.LBB5_1500:                             ;   in Loop: Header=BB5_1429 Depth=2
	global_load_b128 v[18:21], v[18:19], off
	s_wait_xcnt 0x0
	s_and_saveexec_b32 s52, s2
	s_cbranch_execz .LBB5_1428
; %bb.1501:                             ;   in Loop: Header=BB5_1429 Depth=2
	s_clause 0x1
	global_load_b64 v[6:7], v1, s[34:35] offset:40
	global_load_b64 v[24:25], v1, s[34:35] offset:24 scope:SCOPE_SYS
	s_wait_loadcnt 0x2
	global_load_b64 v[20:21], v1, s[34:35]
	s_wait_loadcnt 0x2
	v_readfirstlane_b32 s54, v6
	v_readfirstlane_b32 s55, v7
	s_add_nc_u64 s[2:3], s[54:55], 1
	s_delay_alu instid0(SALU_CYCLE_1) | instskip(NEXT) | instid1(SALU_CYCLE_1)
	s_add_nc_u64 s[50:51], s[2:3], s[50:51]
	s_cmp_eq_u64 s[50:51], 0
	s_cselect_b32 s3, s3, s51
	s_cselect_b32 s2, s2, s50
	s_delay_alu instid0(SALU_CYCLE_1) | instskip(SKIP_1) | instid1(SALU_CYCLE_1)
	v_dual_mov_b32 v23, s3 :: v_dual_mov_b32 v22, s2
	s_and_b64 s[50:51], s[2:3], s[54:55]
	s_mul_u64 s[50:51], s[50:51], 24
	s_wait_loadcnt 0x0
	v_add_nc_u64_e32 v[6:7], s[50:51], v[20:21]
	global_store_b64 v[6:7], v[24:25], off
	global_wb scope:SCOPE_SYS
	s_wait_storecnt 0x0
	s_wait_xcnt 0x0
	global_atomic_cmpswap_b64 v[22:23], v1, v[22:25], s[34:35] offset:24 th:TH_ATOMIC_RETURN scope:SCOPE_SYS
	s_wait_loadcnt 0x0
	v_cmp_ne_u64_e32 vcc_lo, v[22:23], v[24:25]
	s_and_b32 exec_lo, exec_lo, vcc_lo
	s_cbranch_execz .LBB5_1428
; %bb.1502:                             ;   in Loop: Header=BB5_1429 Depth=2
	s_mov_b32 s50, 0
.LBB5_1503:                             ;   Parent Loop BB5_270 Depth=1
                                        ;     Parent Loop BB5_1429 Depth=2
                                        ; =>    This Inner Loop Header: Depth=3
	v_dual_mov_b32 v20, s2 :: v_dual_mov_b32 v21, s3
	s_sleep 1
	global_store_b64 v[6:7], v[22:23], off
	global_wb scope:SCOPE_SYS
	s_wait_storecnt 0x0
	s_wait_xcnt 0x0
	global_atomic_cmpswap_b64 v[20:21], v1, v[20:23], s[34:35] offset:24 th:TH_ATOMIC_RETURN scope:SCOPE_SYS
	s_wait_loadcnt 0x0
	v_cmp_eq_u64_e32 vcc_lo, v[20:21], v[22:23]
	v_mov_b64_e32 v[22:23], v[20:21]
	s_or_b32 s50, vcc_lo, s50
	s_delay_alu instid0(SALU_CYCLE_1)
	s_and_not1_b32 exec_lo, exec_lo, s50
	s_cbranch_execnz .LBB5_1503
	s_branch .LBB5_1428
.LBB5_1504:                             ;   in Loop: Header=BB5_270 Depth=1
	s_branch .LBB5_269
.LBB5_1505:                             ;   in Loop: Header=BB5_270 Depth=1
	s_cbranch_execz .LBB5_269
; %bb.1506:                             ;   in Loop: Header=BB5_270 Depth=1
	v_readfirstlane_b32 s2, v56
	v_mov_b64_e32 v[6:7], 0
	s_delay_alu instid0(VALU_DEP_2)
	v_cmp_eq_u32_e64 s2, s2, v56
	s_and_saveexec_b32 s3, s2
	s_cbranch_execz .LBB5_1512
; %bb.1507:                             ;   in Loop: Header=BB5_270 Depth=1
	s_wait_loadcnt 0x0
	global_load_b64 v[20:21], v1, s[34:35] offset:24 scope:SCOPE_SYS
	s_wait_loadcnt 0x0
	global_inv scope:SCOPE_SYS
	s_clause 0x1
	global_load_b64 v[6:7], v1, s[34:35] offset:40
	global_load_b64 v[18:19], v1, s[34:35]
	s_mov_b32 s44, exec_lo
	s_wait_loadcnt 0x1
	v_and_b32_e32 v6, v6, v20
	v_and_b32_e32 v7, v7, v21
	s_delay_alu instid0(VALU_DEP_1) | instskip(SKIP_1) | instid1(VALU_DEP_1)
	v_mul_u64_e32 v[6:7], 24, v[6:7]
	s_wait_loadcnt 0x0
	v_add_nc_u64_e32 v[6:7], v[18:19], v[6:7]
	global_load_b64 v[18:19], v[6:7], off scope:SCOPE_SYS
	s_wait_xcnt 0x0
	s_wait_loadcnt 0x0
	global_atomic_cmpswap_b64 v[6:7], v1, v[18:21], s[34:35] offset:24 th:TH_ATOMIC_RETURN scope:SCOPE_SYS
	s_wait_loadcnt 0x0
	global_inv scope:SCOPE_SYS
	s_wait_xcnt 0x0
	v_cmpx_ne_u64_e64 v[6:7], v[20:21]
	s_cbranch_execz .LBB5_1511
; %bb.1508:                             ;   in Loop: Header=BB5_270 Depth=1
	s_mov_b32 s45, 0
.LBB5_1509:                             ;   Parent Loop BB5_270 Depth=1
                                        ; =>  This Inner Loop Header: Depth=2
	s_sleep 1
	s_clause 0x1
	global_load_b64 v[18:19], v1, s[34:35] offset:40
	global_load_b64 v[22:23], v1, s[34:35]
	v_mov_b64_e32 v[20:21], v[6:7]
	s_wait_loadcnt 0x1
	s_delay_alu instid0(VALU_DEP_1) | instskip(SKIP_1) | instid1(VALU_DEP_1)
	v_and_b32_e32 v0, v18, v20
	s_wait_loadcnt 0x0
	v_mad_nc_u64_u32 v[6:7], v0, 24, v[22:23]
	s_delay_alu instid0(VALU_DEP_3) | instskip(NEXT) | instid1(VALU_DEP_1)
	v_and_b32_e32 v0, v19, v21
	v_mad_u32 v7, v0, 24, v7
	global_load_b64 v[18:19], v[6:7], off scope:SCOPE_SYS
	s_wait_xcnt 0x0
	s_wait_loadcnt 0x0
	global_atomic_cmpswap_b64 v[6:7], v1, v[18:21], s[34:35] offset:24 th:TH_ATOMIC_RETURN scope:SCOPE_SYS
	s_wait_loadcnt 0x0
	global_inv scope:SCOPE_SYS
	v_cmp_eq_u64_e32 vcc_lo, v[6:7], v[20:21]
	s_or_b32 s45, vcc_lo, s45
	s_wait_xcnt 0x0
	s_and_not1_b32 exec_lo, exec_lo, s45
	s_cbranch_execnz .LBB5_1509
; %bb.1510:                             ;   in Loop: Header=BB5_270 Depth=1
	s_or_b32 exec_lo, exec_lo, s45
.LBB5_1511:                             ;   in Loop: Header=BB5_270 Depth=1
	s_delay_alu instid0(SALU_CYCLE_1)
	s_or_b32 exec_lo, exec_lo, s44
.LBB5_1512:                             ;   in Loop: Header=BB5_270 Depth=1
	s_delay_alu instid0(SALU_CYCLE_1)
	s_or_b32 exec_lo, exec_lo, s3
	s_wait_loadcnt 0x0
	s_clause 0x1
	global_load_b64 v[18:19], v1, s[34:35] offset:40
	global_load_b128 v[20:23], v1, s[34:35]
	v_readfirstlane_b32 s44, v6
	v_readfirstlane_b32 s45, v7
	s_mov_b32 s3, exec_lo
	s_wait_loadcnt 0x1
	v_and_b32_e32 v18, s44, v18
	v_and_b32_e32 v19, s45, v19
	s_delay_alu instid0(VALU_DEP_1) | instskip(SKIP_1) | instid1(VALU_DEP_1)
	v_mul_u64_e32 v[6:7], 24, v[18:19]
	s_wait_loadcnt 0x0
	v_add_nc_u64_e32 v[6:7], v[20:21], v[6:7]
	s_wait_xcnt 0x0
	s_and_saveexec_b32 s46, s2
	s_cbranch_execz .LBB5_1514
; %bb.1513:                             ;   in Loop: Header=BB5_270 Depth=1
	v_mov_b32_e32 v0, s3
	global_store_b128 v[6:7], v[0:3], off offset:8
.LBB5_1514:                             ;   in Loop: Header=BB5_270 Depth=1
	s_wait_xcnt 0x0
	s_or_b32 exec_lo, exec_lo, s46
	v_lshlrev_b64_e32 v[18:19], 12, v[18:19]
	v_and_or_b32 v16, 0xffffff1d, v16, 34
	s_delay_alu instid0(VALU_DEP_2) | instskip(SKIP_1) | instid1(VALU_DEP_2)
	v_add_nc_u64_e32 v[22:23], v[22:23], v[18:19]
	v_dual_mov_b32 v18, v1 :: v_dual_mov_b32 v19, v1
	v_readfirstlane_b32 s46, v22
	s_delay_alu instid0(VALU_DEP_3)
	v_readfirstlane_b32 s47, v23
	v_mov_b64_e32 v[24:25], s[6:7]
	v_mov_b64_e32 v[22:23], s[4:5]
	s_clause 0x3
	global_store_b128 v42, v[16:19], s[46:47]
	global_store_b128 v42, v[22:25], s[46:47] offset:16
	global_store_b128 v42, v[22:25], s[46:47] offset:32
	;; [unrolled: 1-line block ×3, first 2 shown]
	s_wait_xcnt 0x0
	s_and_saveexec_b32 s3, s2
	s_cbranch_execz .LBB5_1522
; %bb.1515:                             ;   in Loop: Header=BB5_270 Depth=1
	s_clause 0x1
	global_load_b64 v[24:25], v1, s[34:35] offset:32 scope:SCOPE_SYS
	global_load_b64 v[16:17], v1, s[34:35] offset:40
	s_mov_b32 s46, exec_lo
	v_dual_mov_b32 v22, s44 :: v_dual_mov_b32 v23, s45
	s_wait_loadcnt 0x0
	v_and_b32_e32 v17, s45, v17
	v_and_b32_e32 v16, s44, v16
	s_delay_alu instid0(VALU_DEP_1) | instskip(NEXT) | instid1(VALU_DEP_1)
	v_mul_u64_e32 v[16:17], 24, v[16:17]
	v_add_nc_u64_e32 v[20:21], v[20:21], v[16:17]
	global_store_b64 v[20:21], v[24:25], off
	global_wb scope:SCOPE_SYS
	s_wait_storecnt 0x0
	s_wait_xcnt 0x0
	global_atomic_cmpswap_b64 v[18:19], v1, v[22:25], s[34:35] offset:32 th:TH_ATOMIC_RETURN scope:SCOPE_SYS
	s_wait_loadcnt 0x0
	v_cmpx_ne_u64_e64 v[18:19], v[24:25]
	s_cbranch_execz .LBB5_1518
; %bb.1516:                             ;   in Loop: Header=BB5_270 Depth=1
	s_mov_b32 s47, 0
.LBB5_1517:                             ;   Parent Loop BB5_270 Depth=1
                                        ; =>  This Inner Loop Header: Depth=2
	v_dual_mov_b32 v16, s44 :: v_dual_mov_b32 v17, s45
	s_sleep 1
	global_store_b64 v[20:21], v[18:19], off
	global_wb scope:SCOPE_SYS
	s_wait_storecnt 0x0
	s_wait_xcnt 0x0
	global_atomic_cmpswap_b64 v[16:17], v1, v[16:19], s[34:35] offset:32 th:TH_ATOMIC_RETURN scope:SCOPE_SYS
	s_wait_loadcnt 0x0
	v_cmp_eq_u64_e32 vcc_lo, v[16:17], v[18:19]
	v_mov_b64_e32 v[18:19], v[16:17]
	s_or_b32 s47, vcc_lo, s47
	s_delay_alu instid0(SALU_CYCLE_1)
	s_and_not1_b32 exec_lo, exec_lo, s47
	s_cbranch_execnz .LBB5_1517
.LBB5_1518:                             ;   in Loop: Header=BB5_270 Depth=1
	s_or_b32 exec_lo, exec_lo, s46
	global_load_b64 v[16:17], v1, s[34:35] offset:16
	s_mov_b32 s47, exec_lo
	s_mov_b32 s46, exec_lo
	v_mbcnt_lo_u32_b32 v0, s47, 0
	s_wait_xcnt 0x0
	s_delay_alu instid0(VALU_DEP_1)
	v_cmpx_eq_u32_e32 0, v0
	s_cbranch_execz .LBB5_1520
; %bb.1519:                             ;   in Loop: Header=BB5_270 Depth=1
	s_bcnt1_i32_b32 s47, s47
	s_delay_alu instid0(SALU_CYCLE_1)
	v_mov_b32_e32 v0, s47
	global_wb scope:SCOPE_SYS
	s_wait_loadcnt 0x0
	s_wait_storecnt 0x0
	global_atomic_add_u64 v[16:17], v[0:1], off offset:8 scope:SCOPE_SYS
.LBB5_1520:                             ;   in Loop: Header=BB5_270 Depth=1
	s_wait_xcnt 0x0
	s_or_b32 exec_lo, exec_lo, s46
	s_wait_loadcnt 0x0
	global_load_b64 v[18:19], v[16:17], off offset:16
	s_wait_loadcnt 0x0
	v_cmp_eq_u64_e32 vcc_lo, 0, v[18:19]
	s_cbranch_vccnz .LBB5_1522
; %bb.1521:                             ;   in Loop: Header=BB5_270 Depth=1
	global_load_b32 v0, v[16:17], off offset:24
	s_wait_loadcnt 0x0
	v_readfirstlane_b32 s46, v0
	global_wb scope:SCOPE_SYS
	s_wait_storecnt 0x0
	s_wait_xcnt 0x0
	global_store_b64 v[18:19], v[0:1], off scope:SCOPE_SYS
	s_and_b32 m0, s46, 0xffffff
	s_sendmsg sendmsg(MSG_INTERRUPT)
.LBB5_1522:                             ;   in Loop: Header=BB5_270 Depth=1
	s_wait_xcnt 0x0
	s_or_b32 exec_lo, exec_lo, s3
	s_branch .LBB5_1526
.LBB5_1523:                             ;   in Loop: Header=BB5_1526 Depth=2
	s_wait_xcnt 0x0
	s_or_b32 exec_lo, exec_lo, s3
	s_delay_alu instid0(VALU_DEP_1)
	v_readfirstlane_b32 s3, v0
	s_cmp_eq_u32 s3, 0
	s_cbranch_scc1 .LBB5_1525
; %bb.1524:                             ;   in Loop: Header=BB5_1526 Depth=2
	s_sleep 1
	s_cbranch_execnz .LBB5_1526
	s_branch .LBB5_1528
.LBB5_1525:                             ;   in Loop: Header=BB5_270 Depth=1
	s_branch .LBB5_1528
.LBB5_1526:                             ;   Parent Loop BB5_270 Depth=1
                                        ; =>  This Inner Loop Header: Depth=2
	v_mov_b32_e32 v0, 1
	s_and_saveexec_b32 s3, s2
	s_cbranch_execz .LBB5_1523
; %bb.1527:                             ;   in Loop: Header=BB5_1526 Depth=2
	global_load_b32 v0, v[6:7], off offset:20 scope:SCOPE_SYS
	s_wait_loadcnt 0x0
	global_inv scope:SCOPE_SYS
	v_and_b32_e32 v0, 1, v0
	s_branch .LBB5_1523
.LBB5_1528:                             ;   in Loop: Header=BB5_270 Depth=1
	s_and_saveexec_b32 s46, s2
	s_cbranch_execz .LBB5_268
; %bb.1529:                             ;   in Loop: Header=BB5_270 Depth=1
	s_clause 0x2
	global_load_b64 v[6:7], v1, s[34:35] offset:40
	global_load_b64 v[20:21], v1, s[34:35] offset:24 scope:SCOPE_SYS
	global_load_b64 v[16:17], v1, s[34:35]
	s_wait_loadcnt 0x2
	v_readfirstlane_b32 s48, v6
	v_readfirstlane_b32 s49, v7
	s_add_nc_u64 s[2:3], s[48:49], 1
	s_delay_alu instid0(SALU_CYCLE_1) | instskip(NEXT) | instid1(SALU_CYCLE_1)
	s_add_nc_u64 s[44:45], s[2:3], s[44:45]
	s_cmp_eq_u64 s[44:45], 0
	s_cselect_b32 s3, s3, s45
	s_cselect_b32 s2, s2, s44
	s_delay_alu instid0(SALU_CYCLE_1) | instskip(SKIP_1) | instid1(SALU_CYCLE_1)
	v_dual_mov_b32 v19, s3 :: v_dual_mov_b32 v18, s2
	s_and_b64 s[44:45], s[2:3], s[48:49]
	s_mul_u64 s[44:45], s[44:45], 24
	s_wait_loadcnt 0x0
	v_add_nc_u64_e32 v[6:7], s[44:45], v[16:17]
	global_store_b64 v[6:7], v[20:21], off
	global_wb scope:SCOPE_SYS
	s_wait_storecnt 0x0
	s_wait_xcnt 0x0
	global_atomic_cmpswap_b64 v[18:19], v1, v[18:21], s[34:35] offset:24 th:TH_ATOMIC_RETURN scope:SCOPE_SYS
	s_wait_loadcnt 0x0
	v_cmp_ne_u64_e32 vcc_lo, v[18:19], v[20:21]
	s_and_b32 exec_lo, exec_lo, vcc_lo
	s_cbranch_execz .LBB5_268
; %bb.1530:                             ;   in Loop: Header=BB5_270 Depth=1
	s_mov_b32 s44, 0
.LBB5_1531:                             ;   Parent Loop BB5_270 Depth=1
                                        ; =>  This Inner Loop Header: Depth=2
	v_dual_mov_b32 v16, s2 :: v_dual_mov_b32 v17, s3
	s_sleep 1
	global_store_b64 v[6:7], v[18:19], off
	global_wb scope:SCOPE_SYS
	s_wait_storecnt 0x0
	s_wait_xcnt 0x0
	global_atomic_cmpswap_b64 v[16:17], v1, v[16:19], s[34:35] offset:24 th:TH_ATOMIC_RETURN scope:SCOPE_SYS
	s_wait_loadcnt 0x0
	v_cmp_eq_u64_e32 vcc_lo, v[16:17], v[18:19]
	v_mov_b64_e32 v[18:19], v[16:17]
	s_or_b32 s44, vcc_lo, s44
	s_delay_alu instid0(SALU_CYCLE_1)
	s_and_not1_b32 exec_lo, exec_lo, s44
	s_cbranch_execnz .LBB5_1531
	s_branch .LBB5_268
.LBB5_1532:
	v_mov_b32_e32 v41, 0
	s_add_nc_u64 s[14:15], s[0:1], 0x48
	s_get_pc_i64 s[44:45]
	s_add_nc_u64 s[44:45], s[44:45], __ockl_printf_append_string_n@rel64+4
	s_get_pc_i64 s[42:43]
	s_add_nc_u64 s[42:43], s[42:43], __ockl_printf_append_args@rel64+4
	global_load_b32 v38, v41, s[20:21]
	s_wait_loadcnt 0x0
	v_cmp_gt_i32_e32 vcc_lo, 1, v38
	s_cbranch_vccnz .LBB5_1592
; %bb.1533:
	s_mov_b32 s24, 0
	v_mov_b64_e32 v[50:51], 0x100000002
	s_mov_b32 s26, s24
	s_mov_b32 s27, s24
	;; [unrolled: 1-line block ×3, first 2 shown]
	v_mov_b64_e32 v[54:55], s[26:27]
	v_mov_b64_e32 v[52:53], s[24:25]
	s_get_pc_i64 s[46:47]
	s_add_nc_u64 s[46:47], s[46:47], .str.9@rel64+4
	s_cmp_lg_u64 s[36:37], 0
	v_dual_mov_b32 v43, v41 :: v_dual_mov_b32 v44, 33
	v_dual_mov_b32 v45, v41 :: v_dual_mov_b32 v46, v41
	v_mov_b32_e32 v47, v41
	s_cselect_b32 s33, 4, 0
	s_cmp_lg_u64 s[46:47], 0
	s_mov_b32 s53, s24
	s_cselect_b32 s52, 6, 0
	s_get_pc_i64 s[48:49]
	s_add_nc_u64 s[48:49], s[48:49], __ockl_printf_begin@rel64+4
	s_branch .LBB5_1535
.LBB5_1534:                             ;   in Loop: Header=BB5_1535 Depth=1
	v_dual_mov_b32 v2, s50 :: v_dual_mov_b32 v3, s51
	v_dual_mov_b32 v4, s0 :: v_dual_mov_b32 v5, s1
	v_mov_b32_e32 v6, 0
	s_mov_b64 s[8:9], s[14:15]
	s_ashr_i32 s54, s54, 1
	s_swap_pc_i64 s[30:31], s[44:45]
	v_dual_mov_b32 v2, s54 :: v_dual_mov_b32 v3, 0
	v_mov_b32_e32 v4, 1
	s_mov_b64 s[8:9], s[14:15]
	s_swap_pc_i64 s[30:31], s[42:43]
	global_load_b32 v38, v41, s[20:21]
	s_add_co_i32 s53, s53, 1
	s_wait_loadcnt 0x0
	v_cmp_ge_i32_e32 vcc_lo, s53, v38
	s_cbranch_vccnz .LBB5_1591
.LBB5_1535:                             ; =>This Loop Header: Depth=1
                                        ;     Child Loop BB5_1538 Depth 2
                                        ;     Child Loop BB5_1546 Depth 2
	;; [unrolled: 1-line block ×9, first 2 shown]
	global_load_b32 v38, v41, s[16:17]
	v_readfirstlane_b32 s0, v56
	v_mov_b64_e32 v[4:5], 0
	s_delay_alu instid0(VALU_DEP_2)
	v_cmp_eq_u32_e64 s0, s0, v56
	s_wait_xcnt 0x0
	s_and_saveexec_b32 s1, s0
	s_cbranch_execz .LBB5_1541
; %bb.1536:                             ;   in Loop: Header=BB5_1535 Depth=1
	global_load_b64 v[2:3], v41, s[34:35] offset:24 scope:SCOPE_SYS
	s_wait_loadcnt 0x0
	global_inv scope:SCOPE_SYS
	s_clause 0x1
	global_load_b64 v[0:1], v41, s[34:35] offset:40
	global_load_b64 v[4:5], v41, s[34:35]
	s_mov_b32 s2, exec_lo
	s_wait_loadcnt 0x1
	v_and_b32_e32 v0, v0, v2
	v_and_b32_e32 v1, v1, v3
	s_delay_alu instid0(VALU_DEP_1) | instskip(SKIP_1) | instid1(VALU_DEP_1)
	v_mul_u64_e32 v[0:1], 24, v[0:1]
	s_wait_loadcnt 0x0
	v_add_nc_u64_e32 v[0:1], v[4:5], v[0:1]
	global_load_b64 v[0:1], v[0:1], off scope:SCOPE_SYS
	s_wait_xcnt 0x0
	s_wait_loadcnt 0x0
	global_atomic_cmpswap_b64 v[4:5], v41, v[0:3], s[34:35] offset:24 th:TH_ATOMIC_RETURN scope:SCOPE_SYS
	s_wait_loadcnt 0x0
	global_inv scope:SCOPE_SYS
	s_wait_xcnt 0x0
	v_cmpx_ne_u64_e64 v[4:5], v[2:3]
	s_cbranch_execz .LBB5_1540
; %bb.1537:                             ;   in Loop: Header=BB5_1535 Depth=1
	s_mov_b32 s3, 0
.LBB5_1538:                             ;   Parent Loop BB5_1535 Depth=1
                                        ; =>  This Inner Loop Header: Depth=2
	s_sleep 1
	s_clause 0x1
	global_load_b64 v[0:1], v41, s[34:35] offset:40
	global_load_b64 v[6:7], v41, s[34:35]
	v_mov_b64_e32 v[2:3], v[4:5]
	s_wait_loadcnt 0x1
	s_delay_alu instid0(VALU_DEP_1) | instskip(SKIP_1) | instid1(VALU_DEP_1)
	v_and_b32_e32 v0, v0, v2
	s_wait_loadcnt 0x0
	v_mad_nc_u64_u32 v[4:5], v0, 24, v[6:7]
	s_delay_alu instid0(VALU_DEP_3) | instskip(NEXT) | instid1(VALU_DEP_1)
	v_and_b32_e32 v0, v1, v3
	v_mad_u32 v5, v0, 24, v5
	global_load_b64 v[0:1], v[4:5], off scope:SCOPE_SYS
	s_wait_xcnt 0x0
	s_wait_loadcnt 0x0
	global_atomic_cmpswap_b64 v[4:5], v41, v[0:3], s[34:35] offset:24 th:TH_ATOMIC_RETURN scope:SCOPE_SYS
	s_wait_loadcnt 0x0
	global_inv scope:SCOPE_SYS
	v_cmp_eq_u64_e32 vcc_lo, v[4:5], v[2:3]
	s_or_b32 s3, vcc_lo, s3
	s_wait_xcnt 0x0
	s_and_not1_b32 exec_lo, exec_lo, s3
	s_cbranch_execnz .LBB5_1538
; %bb.1539:                             ;   in Loop: Header=BB5_1535 Depth=1
	s_or_b32 exec_lo, exec_lo, s3
.LBB5_1540:                             ;   in Loop: Header=BB5_1535 Depth=1
	s_delay_alu instid0(SALU_CYCLE_1)
	s_or_b32 exec_lo, exec_lo, s2
.LBB5_1541:                             ;   in Loop: Header=BB5_1535 Depth=1
	s_delay_alu instid0(SALU_CYCLE_1)
	s_or_b32 exec_lo, exec_lo, s1
	s_clause 0x1
	global_load_b64 v[6:7], v41, s[34:35] offset:40
	global_load_b128 v[0:3], v41, s[34:35]
	v_readfirstlane_b32 s2, v4
	v_readfirstlane_b32 s3, v5
	s_mov_b32 s1, exec_lo
	s_wait_loadcnt 0x1
	v_and_b32_e32 v6, s2, v6
	v_and_b32_e32 v7, s3, v7
	s_delay_alu instid0(VALU_DEP_1) | instskip(SKIP_1) | instid1(VALU_DEP_1)
	v_mul_u64_e32 v[4:5], 24, v[6:7]
	s_wait_loadcnt 0x0
	v_add_nc_u64_e32 v[4:5], v[0:1], v[4:5]
	s_wait_xcnt 0x0
	s_and_saveexec_b32 s4, s0
	s_cbranch_execz .LBB5_1543
; %bb.1542:                             ;   in Loop: Header=BB5_1535 Depth=1
	v_mov_b32_e32 v40, s1
	s_delay_alu instid0(VALU_DEP_1)
	v_mov_b64_e32 v[48:49], v[40:41]
	global_store_b128 v[4:5], v[48:51], off offset:8
.LBB5_1543:                             ;   in Loop: Header=BB5_1535 Depth=1
	s_wait_xcnt 0x0
	s_or_b32 exec_lo, exec_lo, s4
	v_lshlrev_b64_e32 v[6:7], 12, v[6:7]
	s_delay_alu instid0(VALU_DEP_1) | instskip(NEXT) | instid1(VALU_DEP_1)
	v_add_nc_u64_e32 v[6:7], v[2:3], v[6:7]
	v_readfirstlane_b32 s4, v6
	s_delay_alu instid0(VALU_DEP_2)
	v_readfirstlane_b32 s5, v7
	s_clause 0x3
	global_store_b128 v42, v[44:47], s[4:5]
	global_store_b128 v42, v[52:55], s[4:5] offset:16
	global_store_b128 v42, v[52:55], s[4:5] offset:32
	;; [unrolled: 1-line block ×3, first 2 shown]
	s_wait_xcnt 0x0
	s_and_saveexec_b32 s1, s0
	s_cbranch_execz .LBB5_1551
; %bb.1544:                             ;   in Loop: Header=BB5_1535 Depth=1
	s_clause 0x1
	global_load_b64 v[12:13], v41, s[34:35] offset:32 scope:SCOPE_SYS
	global_load_b64 v[2:3], v41, s[34:35] offset:40
	s_mov_b32 s4, exec_lo
	v_dual_mov_b32 v10, s2 :: v_dual_mov_b32 v11, s3
	s_wait_loadcnt 0x0
	v_and_b32_e32 v3, s3, v3
	v_and_b32_e32 v2, s2, v2
	s_delay_alu instid0(VALU_DEP_1) | instskip(NEXT) | instid1(VALU_DEP_1)
	v_mul_u64_e32 v[2:3], 24, v[2:3]
	v_add_nc_u64_e32 v[8:9], v[0:1], v[2:3]
	global_store_b64 v[8:9], v[12:13], off
	global_wb scope:SCOPE_SYS
	s_wait_storecnt 0x0
	s_wait_xcnt 0x0
	global_atomic_cmpswap_b64 v[2:3], v41, v[10:13], s[34:35] offset:32 th:TH_ATOMIC_RETURN scope:SCOPE_SYS
	s_wait_loadcnt 0x0
	s_wait_xcnt 0x0
	v_cmpx_ne_u64_e64 v[2:3], v[12:13]
	s_cbranch_execz .LBB5_1547
; %bb.1545:                             ;   in Loop: Header=BB5_1535 Depth=1
	s_mov_b32 s5, 0
.LBB5_1546:                             ;   Parent Loop BB5_1535 Depth=1
                                        ; =>  This Inner Loop Header: Depth=2
	v_dual_mov_b32 v0, s2 :: v_dual_mov_b32 v1, s3
	s_sleep 1
	global_store_b64 v[8:9], v[2:3], off
	global_wb scope:SCOPE_SYS
	s_wait_storecnt 0x0
	s_wait_xcnt 0x0
	global_atomic_cmpswap_b64 v[0:1], v41, v[0:3], s[34:35] offset:32 th:TH_ATOMIC_RETURN scope:SCOPE_SYS
	s_wait_loadcnt 0x0
	v_cmp_eq_u64_e32 vcc_lo, v[0:1], v[2:3]
	v_mov_b64_e32 v[2:3], v[0:1]
	s_or_b32 s5, vcc_lo, s5
	s_delay_alu instid0(SALU_CYCLE_1)
	s_and_not1_b32 exec_lo, exec_lo, s5
	s_cbranch_execnz .LBB5_1546
.LBB5_1547:                             ;   in Loop: Header=BB5_1535 Depth=1
	s_or_b32 exec_lo, exec_lo, s4
	global_load_b64 v[0:1], v41, s[34:35] offset:16
	s_mov_b32 s5, exec_lo
	s_mov_b32 s4, exec_lo
	v_mbcnt_lo_u32_b32 v2, s5, 0
	s_wait_xcnt 0x0
	s_delay_alu instid0(VALU_DEP_1)
	v_cmpx_eq_u32_e32 0, v2
	s_cbranch_execz .LBB5_1549
; %bb.1548:                             ;   in Loop: Header=BB5_1535 Depth=1
	s_bcnt1_i32_b32 s5, s5
	s_delay_alu instid0(SALU_CYCLE_1)
	v_mov_b32_e32 v40, s5
	global_wb scope:SCOPE_SYS
	s_wait_loadcnt 0x0
	s_wait_storecnt 0x0
	global_atomic_add_u64 v[0:1], v[40:41], off offset:8 scope:SCOPE_SYS
.LBB5_1549:                             ;   in Loop: Header=BB5_1535 Depth=1
	s_wait_xcnt 0x0
	s_or_b32 exec_lo, exec_lo, s4
	s_wait_loadcnt 0x0
	global_load_b64 v[2:3], v[0:1], off offset:16
	s_wait_loadcnt 0x0
	v_cmp_eq_u64_e32 vcc_lo, 0, v[2:3]
	s_cbranch_vccnz .LBB5_1551
; %bb.1550:                             ;   in Loop: Header=BB5_1535 Depth=1
	global_load_b32 v40, v[0:1], off offset:24
	s_wait_loadcnt 0x0
	v_readfirstlane_b32 s4, v40
	global_wb scope:SCOPE_SYS
	s_wait_storecnt 0x0
	s_wait_xcnt 0x0
	global_store_b64 v[2:3], v[40:41], off scope:SCOPE_SYS
	s_and_b32 m0, s4, 0xffffff
	s_sendmsg sendmsg(MSG_INTERRUPT)
.LBB5_1551:                             ;   in Loop: Header=BB5_1535 Depth=1
	s_wait_xcnt 0x0
	s_or_b32 exec_lo, exec_lo, s1
	v_add_nc_u64_e32 v[0:1], v[6:7], v[42:43]
	s_branch .LBB5_1555
.LBB5_1552:                             ;   in Loop: Header=BB5_1555 Depth=2
	s_wait_xcnt 0x0
	s_or_b32 exec_lo, exec_lo, s1
	s_delay_alu instid0(VALU_DEP_1)
	v_readfirstlane_b32 s1, v2
	s_cmp_eq_u32 s1, 0
	s_cbranch_scc1 .LBB5_1554
; %bb.1553:                             ;   in Loop: Header=BB5_1555 Depth=2
	s_sleep 1
	s_cbranch_execnz .LBB5_1555
	s_branch .LBB5_1557
.LBB5_1554:                             ;   in Loop: Header=BB5_1535 Depth=1
	s_branch .LBB5_1557
.LBB5_1555:                             ;   Parent Loop BB5_1535 Depth=1
                                        ; =>  This Inner Loop Header: Depth=2
	v_mov_b32_e32 v2, 1
	s_and_saveexec_b32 s1, s0
	s_cbranch_execz .LBB5_1552
; %bb.1556:                             ;   in Loop: Header=BB5_1555 Depth=2
	global_load_b32 v2, v[4:5], off offset:20 scope:SCOPE_SYS
	s_wait_loadcnt 0x0
	global_inv scope:SCOPE_SYS
	v_and_b32_e32 v2, 1, v2
	s_branch .LBB5_1552
.LBB5_1557:                             ;   in Loop: Header=BB5_1535 Depth=1
	global_load_b64 v[0:1], v[0:1], off
	s_wait_xcnt 0x0
	s_and_saveexec_b32 s4, s0
	s_cbranch_execz .LBB5_1561
; %bb.1558:                             ;   in Loop: Header=BB5_1535 Depth=1
	s_clause 0x2
	global_load_b64 v[2:3], v41, s[34:35] offset:40
	global_load_b64 v[10:11], v41, s[34:35] offset:24 scope:SCOPE_SYS
	global_load_b64 v[4:5], v41, s[34:35]
	s_wait_loadcnt 0x2
	v_readfirstlane_b32 s6, v2
	v_readfirstlane_b32 s7, v3
	s_add_nc_u64 s[0:1], s[6:7], 1
	s_delay_alu instid0(SALU_CYCLE_1) | instskip(NEXT) | instid1(SALU_CYCLE_1)
	s_add_nc_u64 s[2:3], s[0:1], s[2:3]
	s_cmp_eq_u64 s[2:3], 0
	s_cselect_b32 s1, s1, s3
	s_cselect_b32 s0, s0, s2
	s_delay_alu instid0(SALU_CYCLE_1) | instskip(SKIP_1) | instid1(SALU_CYCLE_1)
	v_dual_mov_b32 v9, s1 :: v_dual_mov_b32 v8, s0
	s_and_b64 s[2:3], s[0:1], s[6:7]
	s_mul_u64 s[2:3], s[2:3], 24
	s_wait_loadcnt 0x0
	v_add_nc_u64_e32 v[6:7], s[2:3], v[4:5]
	global_store_b64 v[6:7], v[10:11], off
	global_wb scope:SCOPE_SYS
	s_wait_storecnt 0x0
	s_wait_xcnt 0x0
	global_atomic_cmpswap_b64 v[4:5], v41, v[8:11], s[34:35] offset:24 th:TH_ATOMIC_RETURN scope:SCOPE_SYS
	s_wait_loadcnt 0x0
	v_cmp_ne_u64_e32 vcc_lo, v[4:5], v[10:11]
	s_wait_xcnt 0x0
	s_and_b32 exec_lo, exec_lo, vcc_lo
	s_cbranch_execz .LBB5_1561
; %bb.1559:                             ;   in Loop: Header=BB5_1535 Depth=1
	s_mov_b32 s2, 0
.LBB5_1560:                             ;   Parent Loop BB5_1535 Depth=1
                                        ; =>  This Inner Loop Header: Depth=2
	v_dual_mov_b32 v2, s0 :: v_dual_mov_b32 v3, s1
	s_sleep 1
	global_store_b64 v[6:7], v[4:5], off
	global_wb scope:SCOPE_SYS
	s_wait_storecnt 0x0
	s_wait_xcnt 0x0
	global_atomic_cmpswap_b64 v[2:3], v41, v[2:5], s[34:35] offset:24 th:TH_ATOMIC_RETURN scope:SCOPE_SYS
	s_wait_loadcnt 0x0
	v_cmp_eq_u64_e32 vcc_lo, v[2:3], v[4:5]
	v_mov_b64_e32 v[4:5], v[2:3]
	s_or_b32 s2, vcc_lo, s2
	s_delay_alu instid0(SALU_CYCLE_1)
	s_and_not1_b32 exec_lo, exec_lo, s2
	s_cbranch_execnz .LBB5_1560
.LBB5_1561:                             ;   in Loop: Header=BB5_1535 Depth=1
	s_or_b32 exec_lo, exec_lo, s4
	v_dual_mov_b32 v2, s36 :: v_dual_mov_b32 v3, s37
	v_dual_mov_b32 v4, s33 :: v_dual_mov_b32 v5, 0
	v_mov_b32_e32 v6, 0
	s_mov_b64 s[8:9], s[14:15]
	s_swap_pc_i64 s[30:31], s[44:45]
	v_readfirstlane_b32 s0, v56
	v_mov_b64_e32 v[6:7], 0
	v_mov_b32_e32 v39, v1
	s_delay_alu instid0(VALU_DEP_3)
	v_cmp_eq_u32_e64 s0, s0, v56
	s_and_saveexec_b32 s1, s0
	s_cbranch_execz .LBB5_1567
; %bb.1562:                             ;   in Loop: Header=BB5_1535 Depth=1
	global_load_b64 v[4:5], v41, s[34:35] offset:24 scope:SCOPE_SYS
	s_wait_loadcnt 0x0
	global_inv scope:SCOPE_SYS
	s_clause 0x1
	global_load_b64 v[2:3], v41, s[34:35] offset:40
	global_load_b64 v[6:7], v41, s[34:35]
	s_mov_b32 s2, exec_lo
	s_wait_loadcnt 0x1
	v_and_b32_e32 v2, v2, v4
	v_and_b32_e32 v3, v3, v5
	s_delay_alu instid0(VALU_DEP_1) | instskip(SKIP_1) | instid1(VALU_DEP_1)
	v_mul_u64_e32 v[2:3], 24, v[2:3]
	s_wait_loadcnt 0x0
	v_add_nc_u64_e32 v[2:3], v[6:7], v[2:3]
	global_load_b64 v[2:3], v[2:3], off scope:SCOPE_SYS
	s_wait_xcnt 0x0
	s_wait_loadcnt 0x0
	global_atomic_cmpswap_b64 v[6:7], v41, v[2:5], s[34:35] offset:24 th:TH_ATOMIC_RETURN scope:SCOPE_SYS
	s_wait_loadcnt 0x0
	global_inv scope:SCOPE_SYS
	s_wait_xcnt 0x0
	v_cmpx_ne_u64_e64 v[6:7], v[4:5]
	s_cbranch_execz .LBB5_1566
; %bb.1563:                             ;   in Loop: Header=BB5_1535 Depth=1
	s_mov_b32 s3, 0
.LBB5_1564:                             ;   Parent Loop BB5_1535 Depth=1
                                        ; =>  This Inner Loop Header: Depth=2
	s_sleep 1
	s_clause 0x1
	global_load_b64 v[2:3], v41, s[34:35] offset:40
	global_load_b64 v[8:9], v41, s[34:35]
	v_mov_b64_e32 v[4:5], v[6:7]
	s_wait_loadcnt 0x1
	s_delay_alu instid0(VALU_DEP_1) | instskip(SKIP_1) | instid1(VALU_DEP_1)
	v_and_b32_e32 v1, v2, v4
	s_wait_loadcnt 0x0
	v_mad_nc_u64_u32 v[6:7], v1, 24, v[8:9]
	s_delay_alu instid0(VALU_DEP_3) | instskip(NEXT) | instid1(VALU_DEP_1)
	v_and_b32_e32 v1, v3, v5
	v_mad_u32 v7, v1, 24, v7
	global_load_b64 v[2:3], v[6:7], off scope:SCOPE_SYS
	s_wait_xcnt 0x0
	s_wait_loadcnt 0x0
	global_atomic_cmpswap_b64 v[6:7], v41, v[2:5], s[34:35] offset:24 th:TH_ATOMIC_RETURN scope:SCOPE_SYS
	s_wait_loadcnt 0x0
	global_inv scope:SCOPE_SYS
	v_cmp_eq_u64_e32 vcc_lo, v[6:7], v[4:5]
	s_or_b32 s3, vcc_lo, s3
	s_wait_xcnt 0x0
	s_and_not1_b32 exec_lo, exec_lo, s3
	s_cbranch_execnz .LBB5_1564
; %bb.1565:                             ;   in Loop: Header=BB5_1535 Depth=1
	s_or_b32 exec_lo, exec_lo, s3
.LBB5_1566:                             ;   in Loop: Header=BB5_1535 Depth=1
	s_delay_alu instid0(SALU_CYCLE_1)
	s_or_b32 exec_lo, exec_lo, s2
.LBB5_1567:                             ;   in Loop: Header=BB5_1535 Depth=1
	s_delay_alu instid0(SALU_CYCLE_1)
	s_or_b32 exec_lo, exec_lo, s1
	s_clause 0x1
	global_load_b64 v[8:9], v41, s[34:35] offset:40
	global_load_b128 v[2:5], v41, s[34:35]
	v_readfirstlane_b32 s2, v6
	v_readfirstlane_b32 s3, v7
	s_mov_b32 s1, exec_lo
	s_wait_loadcnt 0x1
	v_and_b32_e32 v8, s2, v8
	v_and_b32_e32 v9, s3, v9
	s_delay_alu instid0(VALU_DEP_1) | instskip(SKIP_1) | instid1(VALU_DEP_1)
	v_mul_u64_e32 v[6:7], 24, v[8:9]
	s_wait_loadcnt 0x0
	v_add_nc_u64_e32 v[6:7], v[2:3], v[6:7]
	s_wait_xcnt 0x0
	s_and_saveexec_b32 s4, s0
	s_cbranch_execz .LBB5_1569
; %bb.1568:                             ;   in Loop: Header=BB5_1535 Depth=1
	v_mov_b32_e32 v40, s1
	s_delay_alu instid0(VALU_DEP_1)
	v_mov_b64_e32 v[48:49], v[40:41]
	global_store_b128 v[6:7], v[48:51], off offset:8
.LBB5_1569:                             ;   in Loop: Header=BB5_1535 Depth=1
	s_wait_xcnt 0x0
	s_or_b32 exec_lo, exec_lo, s4
	v_lshlrev_b64_e32 v[8:9], 12, v[8:9]
	v_add_nc_u32_e32 v40, s53, v38
	v_and_or_b32 v38, 0xffffff1d, v0, 34
	s_delay_alu instid0(VALU_DEP_3) | instskip(SKIP_2) | instid1(VALU_DEP_3)
	v_add_nc_u64_e32 v[4:5], v[4:5], v[8:9]
	v_mov_b64_e32 v[8:9], s[24:25]
	v_mov_b64_e32 v[10:11], s[26:27]
	v_readfirstlane_b32 s4, v4
	s_delay_alu instid0(VALU_DEP_4)
	v_readfirstlane_b32 s5, v5
	s_clause 0x3
	global_store_b128 v42, v[38:41], s[4:5]
	global_store_b128 v42, v[8:11], s[4:5] offset:16
	global_store_b128 v42, v[8:11], s[4:5] offset:32
	;; [unrolled: 1-line block ×3, first 2 shown]
	s_wait_xcnt 0x0
	s_and_saveexec_b32 s1, s0
	s_cbranch_execz .LBB5_1577
; %bb.1570:                             ;   in Loop: Header=BB5_1535 Depth=1
	s_clause 0x1
	global_load_b64 v[10:11], v41, s[34:35] offset:32 scope:SCOPE_SYS
	global_load_b64 v[0:1], v41, s[34:35] offset:40
	s_mov_b32 s4, exec_lo
	v_dual_mov_b32 v8, s2 :: v_dual_mov_b32 v9, s3
	s_wait_loadcnt 0x0
	v_and_b32_e32 v1, s3, v1
	v_and_b32_e32 v0, s2, v0
	s_delay_alu instid0(VALU_DEP_1) | instskip(NEXT) | instid1(VALU_DEP_1)
	v_mul_u64_e32 v[0:1], 24, v[0:1]
	v_add_nc_u64_e32 v[4:5], v[2:3], v[0:1]
	global_store_b64 v[4:5], v[10:11], off
	global_wb scope:SCOPE_SYS
	s_wait_storecnt 0x0
	s_wait_xcnt 0x0
	global_atomic_cmpswap_b64 v[2:3], v41, v[8:11], s[34:35] offset:32 th:TH_ATOMIC_RETURN scope:SCOPE_SYS
	s_wait_loadcnt 0x0
	v_cmpx_ne_u64_e64 v[2:3], v[10:11]
	s_cbranch_execz .LBB5_1573
; %bb.1571:                             ;   in Loop: Header=BB5_1535 Depth=1
	s_mov_b32 s5, 0
.LBB5_1572:                             ;   Parent Loop BB5_1535 Depth=1
                                        ; =>  This Inner Loop Header: Depth=2
	v_dual_mov_b32 v0, s2 :: v_dual_mov_b32 v1, s3
	s_sleep 1
	global_store_b64 v[4:5], v[2:3], off
	global_wb scope:SCOPE_SYS
	s_wait_storecnt 0x0
	s_wait_xcnt 0x0
	global_atomic_cmpswap_b64 v[0:1], v41, v[0:3], s[34:35] offset:32 th:TH_ATOMIC_RETURN scope:SCOPE_SYS
	s_wait_loadcnt 0x0
	v_cmp_eq_u64_e32 vcc_lo, v[0:1], v[2:3]
	v_mov_b64_e32 v[2:3], v[0:1]
	s_or_b32 s5, vcc_lo, s5
	s_delay_alu instid0(SALU_CYCLE_1)
	s_and_not1_b32 exec_lo, exec_lo, s5
	s_cbranch_execnz .LBB5_1572
.LBB5_1573:                             ;   in Loop: Header=BB5_1535 Depth=1
	s_or_b32 exec_lo, exec_lo, s4
	global_load_b64 v[0:1], v41, s[34:35] offset:16
	s_mov_b32 s5, exec_lo
	s_mov_b32 s4, exec_lo
	v_mbcnt_lo_u32_b32 v2, s5, 0
	s_wait_xcnt 0x0
	s_delay_alu instid0(VALU_DEP_1)
	v_cmpx_eq_u32_e32 0, v2
	s_cbranch_execz .LBB5_1575
; %bb.1574:                             ;   in Loop: Header=BB5_1535 Depth=1
	s_bcnt1_i32_b32 s5, s5
	s_delay_alu instid0(SALU_CYCLE_1)
	v_mov_b32_e32 v40, s5
	global_wb scope:SCOPE_SYS
	s_wait_loadcnt 0x0
	s_wait_storecnt 0x0
	global_atomic_add_u64 v[0:1], v[40:41], off offset:8 scope:SCOPE_SYS
.LBB5_1575:                             ;   in Loop: Header=BB5_1535 Depth=1
	s_wait_xcnt 0x0
	s_or_b32 exec_lo, exec_lo, s4
	s_wait_loadcnt 0x0
	global_load_b64 v[2:3], v[0:1], off offset:16
	s_wait_loadcnt 0x0
	v_cmp_eq_u64_e32 vcc_lo, 0, v[2:3]
	s_cbranch_vccnz .LBB5_1577
; %bb.1576:                             ;   in Loop: Header=BB5_1535 Depth=1
	global_load_b32 v40, v[0:1], off offset:24
	s_wait_loadcnt 0x0
	v_readfirstlane_b32 s4, v40
	global_wb scope:SCOPE_SYS
	s_wait_storecnt 0x0
	s_wait_xcnt 0x0
	global_store_b64 v[2:3], v[40:41], off scope:SCOPE_SYS
	s_and_b32 m0, s4, 0xffffff
	s_sendmsg sendmsg(MSG_INTERRUPT)
.LBB5_1577:                             ;   in Loop: Header=BB5_1535 Depth=1
	s_wait_xcnt 0x0
	s_or_b32 exec_lo, exec_lo, s1
	s_branch .LBB5_1581
.LBB5_1578:                             ;   in Loop: Header=BB5_1581 Depth=2
	s_wait_xcnt 0x0
	s_or_b32 exec_lo, exec_lo, s1
	s_delay_alu instid0(VALU_DEP_1)
	v_readfirstlane_b32 s1, v0
	s_cmp_eq_u32 s1, 0
	s_cbranch_scc1 .LBB5_1580
; %bb.1579:                             ;   in Loop: Header=BB5_1581 Depth=2
	s_sleep 1
	s_cbranch_execnz .LBB5_1581
	s_branch .LBB5_1583
.LBB5_1580:                             ;   in Loop: Header=BB5_1535 Depth=1
	s_branch .LBB5_1583
.LBB5_1581:                             ;   Parent Loop BB5_1535 Depth=1
                                        ; =>  This Inner Loop Header: Depth=2
	v_mov_b32_e32 v0, 1
	s_and_saveexec_b32 s1, s0
	s_cbranch_execz .LBB5_1578
; %bb.1582:                             ;   in Loop: Header=BB5_1581 Depth=2
	global_load_b32 v0, v[6:7], off offset:20 scope:SCOPE_SYS
	s_wait_loadcnt 0x0
	global_inv scope:SCOPE_SYS
	v_and_b32_e32 v0, 1, v0
	s_branch .LBB5_1578
.LBB5_1583:                             ;   in Loop: Header=BB5_1535 Depth=1
	s_and_saveexec_b32 s4, s0
	s_cbranch_execz .LBB5_1587
; %bb.1584:                             ;   in Loop: Header=BB5_1535 Depth=1
	s_clause 0x2
	global_load_b64 v[0:1], v41, s[34:35] offset:40
	global_load_b64 v[8:9], v41, s[34:35] offset:24 scope:SCOPE_SYS
	global_load_b64 v[2:3], v41, s[34:35]
	s_wait_loadcnt 0x2
	v_readfirstlane_b32 s6, v0
	v_readfirstlane_b32 s7, v1
	s_add_nc_u64 s[0:1], s[6:7], 1
	s_delay_alu instid0(SALU_CYCLE_1) | instskip(NEXT) | instid1(SALU_CYCLE_1)
	s_add_nc_u64 s[2:3], s[0:1], s[2:3]
	s_cmp_eq_u64 s[2:3], 0
	s_cselect_b32 s1, s1, s3
	s_cselect_b32 s0, s0, s2
	s_delay_alu instid0(SALU_CYCLE_1) | instskip(SKIP_1) | instid1(SALU_CYCLE_1)
	v_dual_mov_b32 v7, s1 :: v_dual_mov_b32 v6, s0
	s_and_b64 s[2:3], s[0:1], s[6:7]
	s_mul_u64 s[2:3], s[2:3], 24
	s_wait_loadcnt 0x0
	v_add_nc_u64_e32 v[4:5], s[2:3], v[2:3]
	global_store_b64 v[4:5], v[8:9], off
	global_wb scope:SCOPE_SYS
	s_wait_storecnt 0x0
	s_wait_xcnt 0x0
	global_atomic_cmpswap_b64 v[2:3], v41, v[6:9], s[34:35] offset:24 th:TH_ATOMIC_RETURN scope:SCOPE_SYS
	s_wait_loadcnt 0x0
	v_cmp_ne_u64_e32 vcc_lo, v[2:3], v[8:9]
	s_and_b32 exec_lo, exec_lo, vcc_lo
	s_cbranch_execz .LBB5_1587
; %bb.1585:                             ;   in Loop: Header=BB5_1535 Depth=1
	s_mov_b32 s2, 0
.LBB5_1586:                             ;   Parent Loop BB5_1535 Depth=1
                                        ; =>  This Inner Loop Header: Depth=2
	v_dual_mov_b32 v0, s0 :: v_dual_mov_b32 v1, s1
	s_sleep 1
	global_store_b64 v[4:5], v[2:3], off
	global_wb scope:SCOPE_SYS
	s_wait_storecnt 0x0
	s_wait_xcnt 0x0
	global_atomic_cmpswap_b64 v[0:1], v41, v[0:3], s[34:35] offset:24 th:TH_ATOMIC_RETURN scope:SCOPE_SYS
	s_wait_loadcnt 0x0
	v_cmp_eq_u64_e32 vcc_lo, v[0:1], v[2:3]
	v_mov_b64_e32 v[2:3], v[0:1]
	s_or_b32 s2, vcc_lo, s2
	s_delay_alu instid0(SALU_CYCLE_1)
	s_and_not1_b32 exec_lo, exec_lo, s2
	s_cbranch_execnz .LBB5_1586
.LBB5_1587:                             ;   in Loop: Header=BB5_1535 Depth=1
	s_or_b32 exec_lo, exec_lo, s4
	v_mov_b32_e32 v0, s53
	s_mov_b64 s[8:9], s[14:15]
	global_load_b32 v0, v0, s[28:29] scale_offset
	s_wait_loadcnt 0x0
	v_readfirstlane_b32 s54, v0
	s_bitcmp0_b32 s54, 0
	s_cselect_b32 s51, s41, s39
	s_cselect_b32 s50, s40, s38
	s_swap_pc_i64 s[30:31], s[48:49]
	v_dual_mov_b32 v2, s46 :: v_dual_mov_b32 v3, s47
	v_dual_mov_b32 v4, s52 :: v_dual_mov_b32 v5, 0
	v_mov_b32_e32 v6, 0
	s_mov_b64 s[8:9], s[14:15]
	s_swap_pc_i64 s[30:31], s[44:45]
	s_cmp_eq_u64 s[50:51], 0
	s_mov_b64 s[0:1], 0
	s_cbranch_scc1 .LBB5_1534
; %bb.1588:                             ;   in Loop: Header=BB5_1535 Depth=1
	s_add_nc_u64 s[0:1], s[50:51], -1
.LBB5_1589:                             ;   Parent Loop BB5_1535 Depth=1
                                        ; =>  This Inner Loop Header: Depth=2
	s_load_u8 s2, s[0:1], 0x1
	s_wait_xcnt 0x0
	s_add_nc_u64 s[0:1], s[0:1], 1
	s_wait_kmcnt 0x0
	s_cmp_lg_u32 s2, 0
	s_cbranch_scc1 .LBB5_1589
; %bb.1590:                             ;   in Loop: Header=BB5_1535 Depth=1
	s_sub_nc_u64 s[0:1], s[0:1], s[50:51]
	s_delay_alu instid0(SALU_CYCLE_1)
	s_add_nc_u64 s[0:1], s[0:1], 1
	s_branch .LBB5_1534
.LBB5_1591:
	s_wait_xcnt 0x1
	v_mov_b32_e32 v0, 0
	global_load_b32 v39, v0, s[16:17]
.LBB5_1592:
	v_mov_b32_e32 v6, 0
	v_readfirstlane_b32 s0, v56
	v_mov_b64_e32 v[4:5], 0
	s_clause 0x1
	global_load_b32 v41, v6, s[18:19]
	global_load_b32 v40, v6, s[22:23]
	v_cmp_eq_u32_e64 s0, s0, v56
	s_wait_xcnt 0x0
	s_and_saveexec_b32 s1, s0
	s_cbranch_execz .LBB5_1598
; %bb.1593:
	global_load_b64 v[2:3], v6, s[34:35] offset:24 scope:SCOPE_SYS
	s_wait_loadcnt 0x0
	global_inv scope:SCOPE_SYS
	s_clause 0x1
	global_load_b64 v[0:1], v6, s[34:35] offset:40
	global_load_b64 v[4:5], v6, s[34:35]
	s_mov_b32 s2, exec_lo
	s_wait_loadcnt 0x1
	v_and_b32_e32 v0, v0, v2
	v_and_b32_e32 v1, v1, v3
	s_delay_alu instid0(VALU_DEP_1) | instskip(SKIP_1) | instid1(VALU_DEP_1)
	v_mul_u64_e32 v[0:1], 24, v[0:1]
	s_wait_loadcnt 0x0
	v_add_nc_u64_e32 v[0:1], v[4:5], v[0:1]
	global_load_b64 v[0:1], v[0:1], off scope:SCOPE_SYS
	s_wait_xcnt 0x0
	s_wait_loadcnt 0x0
	global_atomic_cmpswap_b64 v[4:5], v6, v[0:3], s[34:35] offset:24 th:TH_ATOMIC_RETURN scope:SCOPE_SYS
	s_wait_loadcnt 0x0
	global_inv scope:SCOPE_SYS
	s_wait_xcnt 0x0
	v_cmpx_ne_u64_e64 v[4:5], v[2:3]
	s_cbranch_execz .LBB5_1597
; %bb.1594:
	v_mov_b32_e32 v0, 0
	s_mov_b32 s3, 0
.LBB5_1595:                             ; =>This Inner Loop Header: Depth=1
	s_sleep 1
	s_clause 0x1
	global_load_b64 v[2:3], v0, s[34:35] offset:40
	global_load_b64 v[8:9], v0, s[34:35]
	v_mov_b64_e32 v[10:11], v[4:5]
	s_wait_loadcnt 0x1
	s_delay_alu instid0(VALU_DEP_1) | instskip(SKIP_1) | instid1(VALU_DEP_1)
	v_and_b32_e32 v1, v2, v10
	s_wait_loadcnt 0x0
	v_mad_nc_u64_u32 v[4:5], v1, 24, v[8:9]
	s_delay_alu instid0(VALU_DEP_3) | instskip(NEXT) | instid1(VALU_DEP_1)
	v_and_b32_e32 v1, v3, v11
	v_mad_u32 v5, v1, 24, v5
	global_load_b64 v[8:9], v[4:5], off scope:SCOPE_SYS
	s_wait_xcnt 0x0
	s_wait_loadcnt 0x0
	global_atomic_cmpswap_b64 v[4:5], v0, v[8:11], s[34:35] offset:24 th:TH_ATOMIC_RETURN scope:SCOPE_SYS
	s_wait_loadcnt 0x0
	global_inv scope:SCOPE_SYS
	v_cmp_eq_u64_e32 vcc_lo, v[4:5], v[10:11]
	s_or_b32 s3, vcc_lo, s3
	s_wait_xcnt 0x0
	s_and_not1_b32 exec_lo, exec_lo, s3
	s_cbranch_execnz .LBB5_1595
; %bb.1596:
	s_or_b32 exec_lo, exec_lo, s3
.LBB5_1597:
	s_delay_alu instid0(SALU_CYCLE_1)
	s_or_b32 exec_lo, exec_lo, s2
.LBB5_1598:
	s_delay_alu instid0(SALU_CYCLE_1)
	s_or_b32 exec_lo, exec_lo, s1
	s_clause 0x1
	global_load_b64 v[8:9], v6, s[34:35] offset:40
	global_load_b128 v[0:3], v6, s[34:35]
	v_readfirstlane_b32 s2, v4
	v_readfirstlane_b32 s3, v5
	s_mov_b32 s1, exec_lo
	s_wait_loadcnt 0x1
	s_wait_xcnt 0x0
	v_and_b32_e32 v6, s2, v8
	v_and_b32_e32 v7, s3, v9
	s_delay_alu instid0(VALU_DEP_1) | instskip(SKIP_1) | instid1(VALU_DEP_1)
	v_mul_u64_e32 v[4:5], 24, v[6:7]
	s_wait_loadcnt 0x0
	v_add_nc_u64_e32 v[4:5], v[0:1], v[4:5]
	s_and_saveexec_b32 s4, s0
	s_cbranch_execz .LBB5_1600
; %bb.1599:
	v_mov_b64_e32 v[10:11], 0x100000002
	v_dual_mov_b32 v8, s1 :: v_dual_mov_b32 v9, 0
	global_store_b128 v[4:5], v[8:11], off offset:8
.LBB5_1600:
	s_wait_xcnt 0x0
	s_or_b32 exec_lo, exec_lo, s4
	v_lshlrev_b64_e32 v[6:7], 12, v[6:7]
	s_mov_b32 s4, 0
	v_dual_mov_b32 v43, 0 :: v_dual_mov_b32 v8, 33
	s_mov_b32 s6, s4
	s_mov_b32 s7, s4
	;; [unrolled: 1-line block ×3, first 2 shown]
	s_delay_alu instid0(VALU_DEP_2)
	v_add_nc_u64_e32 v[6:7], v[2:3], v[6:7]
	v_mov_b64_e32 v[14:15], s[6:7]
	v_mov_b64_e32 v[12:13], s[4:5]
	v_dual_mov_b32 v9, v43 :: v_dual_mov_b32 v10, v43
	v_mov_b32_e32 v11, v43
	v_readfirstlane_b32 s8, v6
	v_readfirstlane_b32 s9, v7
	s_clause 0x3
	global_store_b128 v42, v[8:11], s[8:9]
	global_store_b128 v42, v[12:15], s[8:9] offset:16
	global_store_b128 v42, v[12:15], s[8:9] offset:32
	;; [unrolled: 1-line block ×3, first 2 shown]
	s_wait_xcnt 0x0
	s_and_saveexec_b32 s1, s0
	s_cbranch_execz .LBB5_1608
; %bb.1601:
	s_clause 0x1
	global_load_b64 v[12:13], v43, s[34:35] offset:32 scope:SCOPE_SYS
	global_load_b64 v[2:3], v43, s[34:35] offset:40
	s_mov_b32 s4, exec_lo
	v_dual_mov_b32 v10, s2 :: v_dual_mov_b32 v11, s3
	s_wait_loadcnt 0x0
	v_and_b32_e32 v3, s3, v3
	v_and_b32_e32 v2, s2, v2
	s_delay_alu instid0(VALU_DEP_1) | instskip(NEXT) | instid1(VALU_DEP_1)
	v_mul_u64_e32 v[2:3], 24, v[2:3]
	v_add_nc_u64_e32 v[8:9], v[0:1], v[2:3]
	global_store_b64 v[8:9], v[12:13], off
	global_wb scope:SCOPE_SYS
	s_wait_storecnt 0x0
	s_wait_xcnt 0x0
	global_atomic_cmpswap_b64 v[2:3], v43, v[10:13], s[34:35] offset:32 th:TH_ATOMIC_RETURN scope:SCOPE_SYS
	s_wait_loadcnt 0x0
	v_cmpx_ne_u64_e64 v[2:3], v[12:13]
	s_cbranch_execz .LBB5_1604
; %bb.1602:
	v_mov_b32_e32 v10, 0
	s_mov_b32 s5, 0
.LBB5_1603:                             ; =>This Inner Loop Header: Depth=1
	v_dual_mov_b32 v0, s2 :: v_dual_mov_b32 v1, s3
	s_sleep 1
	global_store_b64 v[8:9], v[2:3], off
	global_wb scope:SCOPE_SYS
	s_wait_storecnt 0x0
	s_wait_xcnt 0x0
	global_atomic_cmpswap_b64 v[0:1], v10, v[0:3], s[34:35] offset:32 th:TH_ATOMIC_RETURN scope:SCOPE_SYS
	s_wait_loadcnt 0x0
	v_cmp_eq_u64_e32 vcc_lo, v[0:1], v[2:3]
	v_mov_b64_e32 v[2:3], v[0:1]
	s_or_b32 s5, vcc_lo, s5
	s_delay_alu instid0(SALU_CYCLE_1)
	s_and_not1_b32 exec_lo, exec_lo, s5
	s_cbranch_execnz .LBB5_1603
.LBB5_1604:
	s_or_b32 exec_lo, exec_lo, s4
	v_mov_b32_e32 v3, 0
	s_mov_b32 s5, exec_lo
	s_mov_b32 s4, exec_lo
	v_mbcnt_lo_u32_b32 v2, s5, 0
	global_load_b64 v[0:1], v3, s[34:35] offset:16
	s_wait_xcnt 0x0
	v_cmpx_eq_u32_e32 0, v2
	s_cbranch_execz .LBB5_1606
; %bb.1605:
	s_bcnt1_i32_b32 s5, s5
	s_delay_alu instid0(SALU_CYCLE_1)
	v_mov_b32_e32 v2, s5
	global_wb scope:SCOPE_SYS
	s_wait_loadcnt 0x0
	s_wait_storecnt 0x0
	global_atomic_add_u64 v[0:1], v[2:3], off offset:8 scope:SCOPE_SYS
.LBB5_1606:
	s_wait_xcnt 0x0
	s_or_b32 exec_lo, exec_lo, s4
	s_wait_loadcnt 0x0
	global_load_b64 v[2:3], v[0:1], off offset:16
	s_wait_loadcnt 0x0
	v_cmp_eq_u64_e32 vcc_lo, 0, v[2:3]
	s_cbranch_vccnz .LBB5_1608
; %bb.1607:
	global_load_b32 v0, v[0:1], off offset:24
	s_wait_xcnt 0x0
	v_mov_b32_e32 v1, 0
	s_wait_loadcnt 0x0
	v_readfirstlane_b32 s4, v0
	global_wb scope:SCOPE_SYS
	s_wait_storecnt 0x0
	global_store_b64 v[2:3], v[0:1], off scope:SCOPE_SYS
	s_and_b32 m0, s4, 0xffffff
	s_sendmsg sendmsg(MSG_INTERRUPT)
.LBB5_1608:
	s_wait_xcnt 0x0
	s_or_b32 exec_lo, exec_lo, s1
	v_add_nc_u64_e32 v[0:1], v[6:7], v[42:43]
	s_branch .LBB5_1612
.LBB5_1609:                             ;   in Loop: Header=BB5_1612 Depth=1
	s_wait_xcnt 0x0
	s_or_b32 exec_lo, exec_lo, s1
	s_delay_alu instid0(VALU_DEP_1)
	v_readfirstlane_b32 s1, v2
	s_cmp_eq_u32 s1, 0
	s_cbranch_scc1 .LBB5_1611
; %bb.1610:                             ;   in Loop: Header=BB5_1612 Depth=1
	s_sleep 1
	s_cbranch_execnz .LBB5_1612
	s_branch .LBB5_1614
.LBB5_1611:
	s_branch .LBB5_1614
.LBB5_1612:                             ; =>This Inner Loop Header: Depth=1
	v_mov_b32_e32 v2, 1
	s_and_saveexec_b32 s1, s0
	s_cbranch_execz .LBB5_1609
; %bb.1613:                             ;   in Loop: Header=BB5_1612 Depth=1
	global_load_b32 v2, v[4:5], off offset:20 scope:SCOPE_SYS
	s_wait_loadcnt 0x0
	global_inv scope:SCOPE_SYS
	v_and_b32_e32 v2, 1, v2
	s_branch .LBB5_1609
.LBB5_1614:
	global_load_b64 v[0:1], v[0:1], off
	s_wait_xcnt 0x0
	s_and_saveexec_b32 s4, s0
	s_cbranch_execz .LBB5_1618
; %bb.1615:
	v_mov_b32_e32 v8, 0
	s_clause 0x2
	global_load_b64 v[2:3], v8, s[34:35] offset:40
	global_load_b64 v[12:13], v8, s[34:35] offset:24 scope:SCOPE_SYS
	global_load_b64 v[4:5], v8, s[34:35]
	s_wait_loadcnt 0x2
	v_readfirstlane_b32 s6, v2
	v_readfirstlane_b32 s7, v3
	s_add_nc_u64 s[0:1], s[6:7], 1
	s_delay_alu instid0(SALU_CYCLE_1) | instskip(NEXT) | instid1(SALU_CYCLE_1)
	s_add_nc_u64 s[2:3], s[0:1], s[2:3]
	s_cmp_eq_u64 s[2:3], 0
	s_cselect_b32 s1, s1, s3
	s_cselect_b32 s0, s0, s2
	v_mov_b32_e32 v11, s1
	s_and_b64 s[2:3], s[0:1], s[6:7]
	v_mov_b32_e32 v10, s0
	s_mul_u64 s[2:3], s[2:3], 24
	s_wait_loadcnt 0x0
	v_add_nc_u64_e32 v[6:7], s[2:3], v[4:5]
	global_store_b64 v[6:7], v[12:13], off
	global_wb scope:SCOPE_SYS
	s_wait_storecnt 0x0
	s_wait_xcnt 0x0
	global_atomic_cmpswap_b64 v[4:5], v8, v[10:13], s[34:35] offset:24 th:TH_ATOMIC_RETURN scope:SCOPE_SYS
	s_wait_loadcnt 0x0
	v_cmp_ne_u64_e32 vcc_lo, v[4:5], v[12:13]
	s_and_b32 exec_lo, exec_lo, vcc_lo
	s_cbranch_execz .LBB5_1618
; %bb.1616:
	s_mov_b32 s2, 0
.LBB5_1617:                             ; =>This Inner Loop Header: Depth=1
	v_dual_mov_b32 v2, s0 :: v_dual_mov_b32 v3, s1
	s_sleep 1
	global_store_b64 v[6:7], v[4:5], off
	global_wb scope:SCOPE_SYS
	s_wait_storecnt 0x0
	s_wait_xcnt 0x0
	global_atomic_cmpswap_b64 v[2:3], v8, v[2:5], s[34:35] offset:24 th:TH_ATOMIC_RETURN scope:SCOPE_SYS
	s_wait_loadcnt 0x0
	v_cmp_eq_u64_e32 vcc_lo, v[2:3], v[4:5]
	v_mov_b64_e32 v[4:5], v[2:3]
	s_or_b32 s2, vcc_lo, s2
	s_delay_alu instid0(SALU_CYCLE_1)
	s_and_not1_b32 exec_lo, exec_lo, s2
	s_cbranch_execnz .LBB5_1617
.LBB5_1618:
	s_or_b32 exec_lo, exec_lo, s4
	s_get_pc_i64 s[0:1]
	s_add_nc_u64 s[0:1], s[0:1], .str.10@rel64+4
	s_delay_alu instid0(SALU_CYCLE_1) | instskip(SKIP_3) | instid1(SALU_CYCLE_1)
	v_dual_mov_b32 v5, 0 :: v_dual_mov_b32 v2, s0
	s_cmp_lg_u64 s[0:1], 0
	v_mov_b32_e32 v6, 0
	s_cselect_b32 s2, 42, 0
	v_dual_mov_b32 v3, s1 :: v_dual_mov_b32 v4, s2
	s_mov_b64 s[8:9], s[14:15]
	s_swap_pc_i64 s[30:31], s[44:45]
	v_dual_mov_b32 v2, v39 :: v_dual_mov_b32 v3, 0
	v_mov_b32_e32 v4, 0
	s_mov_b64 s[8:9], s[14:15]
	s_swap_pc_i64 s[30:31], s[42:43]
	v_dual_mov_b32 v2, v41 :: v_dual_mov_b32 v3, 0
	v_mov_b32_e32 v4, 0
	;; [unrolled: 4-line block ×4, first 2 shown]
	s_mov_b64 s[8:9], s[14:15]
	s_swap_pc_i64 s[30:31], s[42:43]
	s_endpgm
	.section	.rodata,"a",@progbits
	.p2align	6, 0x0
	.amdhsa_kernel _Z16showDeviceKernelPiS_S_S_S_S_S_S_S_
		.amdhsa_group_segment_fixed_size 0
		.amdhsa_private_segment_fixed_size 0
		.amdhsa_kernarg_size 328
		.amdhsa_user_sgpr_count 2
		.amdhsa_user_sgpr_dispatch_ptr 0
		.amdhsa_user_sgpr_queue_ptr 0
		.amdhsa_user_sgpr_kernarg_segment_ptr 1
		.amdhsa_user_sgpr_dispatch_id 0
		.amdhsa_user_sgpr_kernarg_preload_length 0
		.amdhsa_user_sgpr_kernarg_preload_offset 0
		.amdhsa_user_sgpr_private_segment_size 0
		.amdhsa_wavefront_size32 1
		.amdhsa_uses_dynamic_stack 0
		.amdhsa_enable_private_segment 0
		.amdhsa_system_sgpr_workgroup_id_x 1
		.amdhsa_system_sgpr_workgroup_id_y 0
		.amdhsa_system_sgpr_workgroup_id_z 0
		.amdhsa_system_sgpr_workgroup_info 0
		.amdhsa_system_vgpr_workitem_id 0
		.amdhsa_next_free_vgpr 57
		.amdhsa_next_free_sgpr 66
		.amdhsa_named_barrier_count 0
		.amdhsa_reserve_vcc 1
		.amdhsa_float_round_mode_32 0
		.amdhsa_float_round_mode_16_64 0
		.amdhsa_float_denorm_mode_32 3
		.amdhsa_float_denorm_mode_16_64 3
		.amdhsa_fp16_overflow 0
		.amdhsa_memory_ordered 1
		.amdhsa_forward_progress 1
		.amdhsa_inst_pref_size 255
		.amdhsa_round_robin_scheduling 0
		.amdhsa_exception_fp_ieee_invalid_op 0
		.amdhsa_exception_fp_denorm_src 0
		.amdhsa_exception_fp_ieee_div_zero 0
		.amdhsa_exception_fp_ieee_overflow 0
		.amdhsa_exception_fp_ieee_underflow 0
		.amdhsa_exception_fp_ieee_inexact 0
		.amdhsa_exception_int_div_zero 0
	.end_amdhsa_kernel
	.text
.Lfunc_end5:
	.size	_Z16showDeviceKernelPiS_S_S_S_S_S_S_S_, .Lfunc_end5-_Z16showDeviceKernelPiS_S_S_S_S_S_S_S_
                                        ; -- End function
	.set _Z16showDeviceKernelPiS_S_S_S_S_S_S_S_.num_vgpr, max(57, .L__ockl_printf_append_string_n.num_vgpr, .L__ockl_printf_append_args.num_vgpr, .L__ockl_printf_begin.num_vgpr)
	.set _Z16showDeviceKernelPiS_S_S_S_S_S_S_S_.num_agpr, max(0, .L__ockl_printf_append_string_n.num_agpr, .L__ockl_printf_append_args.num_agpr, .L__ockl_printf_begin.num_agpr)
	.set _Z16showDeviceKernelPiS_S_S_S_S_S_S_S_.numbered_sgpr, max(66, .L__ockl_printf_append_string_n.numbered_sgpr, .L__ockl_printf_append_args.numbered_sgpr, .L__ockl_printf_begin.numbered_sgpr)
	.set _Z16showDeviceKernelPiS_S_S_S_S_S_S_S_.num_named_barrier, max(0, .L__ockl_printf_append_string_n.num_named_barrier, .L__ockl_printf_append_args.num_named_barrier, .L__ockl_printf_begin.num_named_barrier)
	.set _Z16showDeviceKernelPiS_S_S_S_S_S_S_S_.private_seg_size, 0+max(.L__ockl_printf_append_string_n.private_seg_size, .L__ockl_printf_append_args.private_seg_size, .L__ockl_printf_begin.private_seg_size)
	.set _Z16showDeviceKernelPiS_S_S_S_S_S_S_S_.uses_vcc, or(1, .L__ockl_printf_append_string_n.uses_vcc, .L__ockl_printf_append_args.uses_vcc, .L__ockl_printf_begin.uses_vcc)
	.set _Z16showDeviceKernelPiS_S_S_S_S_S_S_S_.uses_flat_scratch, or(0, .L__ockl_printf_append_string_n.uses_flat_scratch, .L__ockl_printf_append_args.uses_flat_scratch, .L__ockl_printf_begin.uses_flat_scratch)
	.set _Z16showDeviceKernelPiS_S_S_S_S_S_S_S_.has_dyn_sized_stack, or(0, .L__ockl_printf_append_string_n.has_dyn_sized_stack, .L__ockl_printf_append_args.has_dyn_sized_stack, .L__ockl_printf_begin.has_dyn_sized_stack)
	.set _Z16showDeviceKernelPiS_S_S_S_S_S_S_S_.has_recursion, or(0, .L__ockl_printf_append_string_n.has_recursion, .L__ockl_printf_append_args.has_recursion, .L__ockl_printf_begin.has_recursion)
	.set _Z16showDeviceKernelPiS_S_S_S_S_S_S_S_.has_indirect_call, or(0, .L__ockl_printf_append_string_n.has_indirect_call, .L__ockl_printf_append_args.has_indirect_call, .L__ockl_printf_begin.has_indirect_call)
	.section	.AMDGPU.csdata,"",@progbits
; Kernel info:
; codeLenInByte = 65728
; TotalNumSgprs: 68
; NumVgprs: 57
; ScratchSize: 0
; MemoryBound: 0
; FloatMode: 240
; IeeeMode: 1
; LDSByteSize: 0 bytes/workgroup (compile time only)
; SGPRBlocks: 0
; VGPRBlocks: 3
; NumSGPRsForWavesPerEU: 68
; NumVGPRsForWavesPerEU: 57
; NamedBarCnt: 0
; Occupancy: 16
; WaveLimiterHint : 1
; COMPUTE_PGM_RSRC2:SCRATCH_EN: 0
; COMPUTE_PGM_RSRC2:USER_SGPR: 2
; COMPUTE_PGM_RSRC2:TRAP_HANDLER: 0
; COMPUTE_PGM_RSRC2:TGID_X_EN: 1
; COMPUTE_PGM_RSRC2:TGID_Y_EN: 0
; COMPUTE_PGM_RSRC2:TGID_Z_EN: 0
; COMPUTE_PGM_RSRC2:TIDIG_COMP_CNT: 0
	.text
	.protected	_Z16printStatsKernelPKiS0_S0_ ; -- Begin function _Z16printStatsKernelPKiS0_S0_
	.globl	_Z16printStatsKernelPKiS0_S0_
	.p2align	8
	.type	_Z16printStatsKernelPKiS0_S0_,@function
_Z16printStatsKernelPKiS0_S0_:          ; @_Z16printStatsKernelPKiS0_S0_
; %bb.0:
	s_clause 0x1
	s_load_b128 s[4:7], s[0:1], 0x0
	s_load_b64 s[8:9], s[0:1], 0x10
	v_mbcnt_lo_u32_b32 v29, -1, 0
	v_mov_b64_e32 v[2:3], 0
	s_wait_kmcnt 0x0
	s_load_b32 s16, s[4:5], 0x0
	s_load_b32 s15, s[6:7], 0x0
	;; [unrolled: 1-line block ×3, first 2 shown]
	s_load_b64 s[2:3], s[0:1], 0x68
	s_wait_xcnt 0x0
	v_readfirstlane_b32 s0, v29
	s_delay_alu instid0(VALU_DEP_1)
	v_cmp_eq_u32_e64 s0, s0, v29
	s_and_saveexec_b32 s1, s0
	s_cbranch_execz .LBB6_6
; %bb.1:
	v_mov_b32_e32 v0, 0
	s_mov_b32 s4, exec_lo
	s_wait_kmcnt 0x0
	global_load_b64 v[4:5], v0, s[2:3] offset:24 scope:SCOPE_SYS
	s_wait_loadcnt 0x0
	global_inv scope:SCOPE_SYS
	s_clause 0x1
	global_load_b64 v[2:3], v0, s[2:3] offset:40
	global_load_b64 v[6:7], v0, s[2:3]
	s_wait_loadcnt 0x1
	v_and_b32_e32 v2, v2, v4
	v_and_b32_e32 v3, v3, v5
	s_delay_alu instid0(VALU_DEP_1) | instskip(SKIP_1) | instid1(VALU_DEP_1)
	v_mul_u64_e32 v[2:3], 24, v[2:3]
	s_wait_loadcnt 0x0
	v_add_nc_u64_e32 v[2:3], v[6:7], v[2:3]
	global_load_b64 v[2:3], v[2:3], off scope:SCOPE_SYS
	s_wait_xcnt 0x0
	s_wait_loadcnt 0x0
	global_atomic_cmpswap_b64 v[2:3], v0, v[2:5], s[2:3] offset:24 th:TH_ATOMIC_RETURN scope:SCOPE_SYS
	s_wait_loadcnt 0x0
	global_inv scope:SCOPE_SYS
	s_wait_xcnt 0x0
	v_cmpx_ne_u64_e64 v[2:3], v[4:5]
	s_cbranch_execz .LBB6_5
; %bb.2:
	s_mov_b32 s5, 0
.LBB6_3:                                ; =>This Inner Loop Header: Depth=1
	s_sleep 1
	s_clause 0x1
	global_load_b64 v[6:7], v0, s[2:3] offset:40
	global_load_b64 v[8:9], v0, s[2:3]
	v_mov_b64_e32 v[4:5], v[2:3]
	s_wait_loadcnt 0x1
	s_delay_alu instid0(VALU_DEP_1) | instskip(SKIP_1) | instid1(VALU_DEP_1)
	v_and_b32_e32 v1, v6, v4
	s_wait_loadcnt 0x0
	v_mad_nc_u64_u32 v[2:3], v1, 24, v[8:9]
	s_delay_alu instid0(VALU_DEP_3) | instskip(NEXT) | instid1(VALU_DEP_1)
	v_and_b32_e32 v1, v7, v5
	v_mad_u32 v3, v1, 24, v3
	global_load_b64 v[2:3], v[2:3], off scope:SCOPE_SYS
	s_wait_xcnt 0x0
	s_wait_loadcnt 0x0
	global_atomic_cmpswap_b64 v[2:3], v0, v[2:5], s[2:3] offset:24 th:TH_ATOMIC_RETURN scope:SCOPE_SYS
	s_wait_loadcnt 0x0
	global_inv scope:SCOPE_SYS
	v_cmp_eq_u64_e32 vcc_lo, v[2:3], v[4:5]
	s_or_b32 s5, vcc_lo, s5
	s_wait_xcnt 0x0
	s_and_not1_b32 exec_lo, exec_lo, s5
	s_cbranch_execnz .LBB6_3
; %bb.4:
	s_or_b32 exec_lo, exec_lo, s5
.LBB6_5:
	s_delay_alu instid0(SALU_CYCLE_1)
	s_or_b32 exec_lo, exec_lo, s4
.LBB6_6:
	s_delay_alu instid0(SALU_CYCLE_1)
	s_or_b32 exec_lo, exec_lo, s1
	v_readfirstlane_b32 s4, v2
	v_mov_b32_e32 v1, 0
	v_readfirstlane_b32 s5, v3
	s_mov_b32 s1, exec_lo
	s_wait_kmcnt 0x0
	s_clause 0x1
	global_load_b64 v[8:9], v1, s[2:3] offset:40
	global_load_b128 v[4:7], v1, s[2:3]
	s_wait_loadcnt 0x1
	v_and_b32_e32 v10, s4, v8
	v_and_b32_e32 v11, s5, v9
	s_delay_alu instid0(VALU_DEP_1) | instskip(SKIP_1) | instid1(VALU_DEP_1)
	v_mul_u64_e32 v[2:3], 24, v[10:11]
	s_wait_loadcnt 0x0
	v_add_nc_u64_e32 v[8:9], v[4:5], v[2:3]
	s_and_saveexec_b32 s6, s0
	s_cbranch_execz .LBB6_8
; %bb.7:
	v_mov_b64_e32 v[2:3], 0x100000002
	v_mov_b32_e32 v0, s1
	global_store_b128 v[8:9], v[0:3], off offset:8
.LBB6_8:
	s_wait_xcnt 0x0
	s_or_b32 exec_lo, exec_lo, s6
	v_lshlrev_b64_e32 v[2:3], 12, v[10:11]
	s_mov_b32 s8, 0
	v_dual_lshlrev_b32 v0, 6, v29 :: v_dual_mov_b32 v10, 33
	s_mov_b32 s10, s8
	s_mov_b32 s11, s8
	;; [unrolled: 1-line block ×3, first 2 shown]
	s_delay_alu instid0(VALU_DEP_2)
	v_add_nc_u64_e32 v[6:7], v[6:7], v[2:3]
	v_mov_b64_e32 v[16:17], s[10:11]
	v_mov_b64_e32 v[14:15], s[8:9]
	v_dual_mov_b32 v11, v1 :: v_dual_mov_b32 v12, v1
	v_mov_b32_e32 v13, v1
	v_readfirstlane_b32 s6, v6
	v_readfirstlane_b32 s7, v7
	s_clause 0x3
	global_store_b128 v0, v[10:13], s[6:7]
	global_store_b128 v0, v[14:17], s[6:7] offset:16
	global_store_b128 v0, v[14:17], s[6:7] offset:32
	;; [unrolled: 1-line block ×3, first 2 shown]
	s_wait_xcnt 0x0
	s_and_saveexec_b32 s1, s0
	s_cbranch_execz .LBB6_16
; %bb.9:
	v_dual_mov_b32 v12, 0 :: v_dual_mov_b32 v15, s5
	s_mov_b32 s6, exec_lo
	s_clause 0x1
	global_load_b64 v[16:17], v12, s[2:3] offset:32 scope:SCOPE_SYS
	global_load_b64 v[2:3], v12, s[2:3] offset:40
	s_wait_loadcnt 0x0
	v_dual_mov_b32 v14, s4 :: v_dual_bitop2_b32 v3, s5, v3 bitop3:0x40
	v_and_b32_e32 v2, s4, v2
	s_delay_alu instid0(VALU_DEP_1) | instskip(NEXT) | instid1(VALU_DEP_1)
	v_mul_u64_e32 v[2:3], 24, v[2:3]
	v_add_nc_u64_e32 v[10:11], v[4:5], v[2:3]
	global_store_b64 v[10:11], v[16:17], off
	global_wb scope:SCOPE_SYS
	s_wait_storecnt 0x0
	s_wait_xcnt 0x0
	global_atomic_cmpswap_b64 v[4:5], v12, v[14:17], s[2:3] offset:32 th:TH_ATOMIC_RETURN scope:SCOPE_SYS
	s_wait_loadcnt 0x0
	v_cmpx_ne_u64_e64 v[4:5], v[16:17]
	s_cbranch_execz .LBB6_12
; %bb.10:
	s_mov_b32 s7, 0
.LBB6_11:                               ; =>This Inner Loop Header: Depth=1
	v_dual_mov_b32 v2, s4 :: v_dual_mov_b32 v3, s5
	s_sleep 1
	global_store_b64 v[10:11], v[4:5], off
	global_wb scope:SCOPE_SYS
	s_wait_storecnt 0x0
	s_wait_xcnt 0x0
	global_atomic_cmpswap_b64 v[2:3], v12, v[2:5], s[2:3] offset:32 th:TH_ATOMIC_RETURN scope:SCOPE_SYS
	s_wait_loadcnt 0x0
	v_cmp_eq_u64_e32 vcc_lo, v[2:3], v[4:5]
	v_mov_b64_e32 v[4:5], v[2:3]
	s_or_b32 s7, vcc_lo, s7
	s_delay_alu instid0(SALU_CYCLE_1)
	s_and_not1_b32 exec_lo, exec_lo, s7
	s_cbranch_execnz .LBB6_11
.LBB6_12:
	s_or_b32 exec_lo, exec_lo, s6
	v_mov_b32_e32 v5, 0
	s_mov_b32 s7, exec_lo
	s_mov_b32 s6, exec_lo
	v_mbcnt_lo_u32_b32 v4, s7, 0
	global_load_b64 v[2:3], v5, s[2:3] offset:16
	s_wait_xcnt 0x0
	v_cmpx_eq_u32_e32 0, v4
	s_cbranch_execz .LBB6_14
; %bb.13:
	s_bcnt1_i32_b32 s7, s7
	s_delay_alu instid0(SALU_CYCLE_1)
	v_mov_b32_e32 v4, s7
	global_wb scope:SCOPE_SYS
	s_wait_loadcnt 0x0
	s_wait_storecnt 0x0
	global_atomic_add_u64 v[2:3], v[4:5], off offset:8 scope:SCOPE_SYS
.LBB6_14:
	s_wait_xcnt 0x0
	s_or_b32 exec_lo, exec_lo, s6
	s_wait_loadcnt 0x0
	global_load_b64 v[4:5], v[2:3], off offset:16
	s_wait_loadcnt 0x0
	v_cmp_eq_u64_e32 vcc_lo, 0, v[4:5]
	s_cbranch_vccnz .LBB6_16
; %bb.15:
	global_load_b32 v2, v[2:3], off offset:24
	s_wait_xcnt 0x0
	v_mov_b32_e32 v3, 0
	s_wait_loadcnt 0x0
	v_readfirstlane_b32 s6, v2
	global_wb scope:SCOPE_SYS
	s_wait_storecnt 0x0
	global_store_b64 v[4:5], v[2:3], off scope:SCOPE_SYS
	s_and_b32 m0, s6, 0xffffff
	s_sendmsg sendmsg(MSG_INTERRUPT)
.LBB6_16:
	s_wait_xcnt 0x0
	s_or_b32 exec_lo, exec_lo, s1
	v_add_nc_u64_e32 v[2:3], v[6:7], v[0:1]
	s_branch .LBB6_20
.LBB6_17:                               ;   in Loop: Header=BB6_20 Depth=1
	s_wait_xcnt 0x0
	s_or_b32 exec_lo, exec_lo, s1
	s_delay_alu instid0(VALU_DEP_1)
	v_readfirstlane_b32 s1, v1
	s_cmp_eq_u32 s1, 0
	s_cbranch_scc1 .LBB6_19
; %bb.18:                               ;   in Loop: Header=BB6_20 Depth=1
	s_sleep 1
	s_cbranch_execnz .LBB6_20
	s_branch .LBB6_22
.LBB6_19:
	s_branch .LBB6_22
.LBB6_20:                               ; =>This Inner Loop Header: Depth=1
	v_mov_b32_e32 v1, 1
	s_and_saveexec_b32 s1, s0
	s_cbranch_execz .LBB6_17
; %bb.21:                               ;   in Loop: Header=BB6_20 Depth=1
	global_load_b32 v1, v[8:9], off offset:20 scope:SCOPE_SYS
	s_wait_loadcnt 0x0
	global_inv scope:SCOPE_SYS
	v_and_b32_e32 v1, 1, v1
	s_branch .LBB6_17
.LBB6_22:
	global_load_b64 v[2:3], v[2:3], off
	s_wait_xcnt 0x0
	s_and_saveexec_b32 s6, s0
	s_cbranch_execz .LBB6_26
; %bb.23:
	v_mov_b32_e32 v1, 0
	s_clause 0x2
	global_load_b64 v[4:5], v1, s[2:3] offset:40
	global_load_b64 v[12:13], v1, s[2:3] offset:24 scope:SCOPE_SYS
	global_load_b64 v[6:7], v1, s[2:3]
	s_wait_loadcnt 0x2
	v_readfirstlane_b32 s8, v4
	v_readfirstlane_b32 s9, v5
	s_add_nc_u64 s[0:1], s[8:9], 1
	s_delay_alu instid0(SALU_CYCLE_1) | instskip(NEXT) | instid1(SALU_CYCLE_1)
	s_add_nc_u64 s[4:5], s[0:1], s[4:5]
	s_cmp_eq_u64 s[4:5], 0
	s_cselect_b32 s1, s1, s5
	s_cselect_b32 s0, s0, s4
	v_mov_b32_e32 v11, s1
	s_and_b64 s[4:5], s[0:1], s[8:9]
	v_mov_b32_e32 v10, s0
	s_mul_u64 s[4:5], s[4:5], 24
	s_wait_loadcnt 0x0
	v_add_nc_u64_e32 v[8:9], s[4:5], v[6:7]
	global_store_b64 v[8:9], v[12:13], off
	global_wb scope:SCOPE_SYS
	s_wait_storecnt 0x0
	s_wait_xcnt 0x0
	global_atomic_cmpswap_b64 v[6:7], v1, v[10:13], s[2:3] offset:24 th:TH_ATOMIC_RETURN scope:SCOPE_SYS
	s_wait_loadcnt 0x0
	v_cmp_ne_u64_e32 vcc_lo, v[6:7], v[12:13]
	s_and_b32 exec_lo, exec_lo, vcc_lo
	s_cbranch_execz .LBB6_26
; %bb.24:
	s_mov_b32 s4, 0
.LBB6_25:                               ; =>This Inner Loop Header: Depth=1
	v_dual_mov_b32 v4, s0 :: v_dual_mov_b32 v5, s1
	s_sleep 1
	global_store_b64 v[8:9], v[6:7], off
	global_wb scope:SCOPE_SYS
	s_wait_storecnt 0x0
	s_wait_xcnt 0x0
	global_atomic_cmpswap_b64 v[4:5], v1, v[4:7], s[2:3] offset:24 th:TH_ATOMIC_RETURN scope:SCOPE_SYS
	s_wait_loadcnt 0x0
	v_cmp_eq_u64_e32 vcc_lo, v[4:5], v[6:7]
	v_mov_b64_e32 v[6:7], v[4:5]
	s_or_b32 s4, vcc_lo, s4
	s_delay_alu instid0(SALU_CYCLE_1)
	s_and_not1_b32 exec_lo, exec_lo, s4
	s_cbranch_execnz .LBB6_25
.LBB6_26:
	s_or_b32 exec_lo, exec_lo, s6
	s_get_pc_i64 s[4:5]
	s_add_nc_u64 s[4:5], s[4:5], .str.11@rel64+4
	s_delay_alu instid0(SALU_CYCLE_1)
	s_cmp_lg_u64 s[4:5], 0
	s_cbranch_scc0 .LBB6_105
; %bb.27:
	v_mov_b64_e32 v[10:11], 0x100000002
	s_wait_loadcnt 0x0
	v_dual_mov_b32 v9, 0 :: v_dual_bitop2_b32 v28, 2, v2 bitop3:0x40
	v_dual_mov_b32 v5, v3 :: v_dual_bitop2_b32 v4, -3, v2 bitop3:0x40
	s_mov_b64 s[6:7], 32
	s_branch .LBB6_29
.LBB6_28:                               ;   in Loop: Header=BB6_29 Depth=1
	s_or_b32 exec_lo, exec_lo, s12
	s_sub_nc_u64 s[6:7], s[6:7], s[8:9]
	s_add_nc_u64 s[4:5], s[4:5], s[8:9]
	s_cmp_lg_u64 s[6:7], 0
	s_cbranch_scc0 .LBB6_104
.LBB6_29:                               ; =>This Loop Header: Depth=1
                                        ;     Child Loop BB6_32 Depth 2
                                        ;     Child Loop BB6_39 Depth 2
	;; [unrolled: 1-line block ×11, first 2 shown]
	v_min_u64 v[6:7], s[6:7], 56
	v_cmp_gt_u64_e64 s0, s[6:7], 7
	s_and_b32 vcc_lo, exec_lo, s0
	v_readfirstlane_b32 s8, v6
	v_readfirstlane_b32 s9, v7
	s_cbranch_vccnz .LBB6_34
; %bb.30:                               ;   in Loop: Header=BB6_29 Depth=1
	v_mov_b64_e32 v[6:7], 0
	s_cmp_eq_u64 s[6:7], 0
	s_cbranch_scc1 .LBB6_33
; %bb.31:                               ;   in Loop: Header=BB6_29 Depth=1
	s_mov_b64 s[0:1], 0
	s_mov_b64 s[10:11], 0
.LBB6_32:                               ;   Parent Loop BB6_29 Depth=1
                                        ; =>  This Inner Loop Header: Depth=2
	s_wait_xcnt 0x0
	s_add_nc_u64 s[12:13], s[4:5], s[10:11]
	s_add_nc_u64 s[10:11], s[10:11], 1
	global_load_u8 v1, v9, s[12:13]
	s_cmp_lg_u32 s8, s10
	s_wait_loadcnt 0x0
	v_and_b32_e32 v8, 0xffff, v1
	s_delay_alu instid0(VALU_DEP_1) | instskip(SKIP_1) | instid1(VALU_DEP_1)
	v_lshlrev_b64_e32 v[12:13], s0, v[8:9]
	s_add_nc_u64 s[0:1], s[0:1], 8
	v_or_b32_e32 v6, v12, v6
	s_delay_alu instid0(VALU_DEP_2)
	v_or_b32_e32 v7, v13, v7
	s_cbranch_scc1 .LBB6_32
.LBB6_33:                               ;   in Loop: Header=BB6_29 Depth=1
	s_mov_b64 s[10:11], s[4:5]
	s_mov_b32 s17, 0
	s_cbranch_execz .LBB6_35
	s_branch .LBB6_36
.LBB6_34:                               ;   in Loop: Header=BB6_29 Depth=1
	s_add_nc_u64 s[10:11], s[4:5], 8
	s_mov_b32 s17, 0
.LBB6_35:                               ;   in Loop: Header=BB6_29 Depth=1
	global_load_b64 v[6:7], v9, s[4:5]
	s_add_co_i32 s17, s8, -8
.LBB6_36:                               ;   in Loop: Header=BB6_29 Depth=1
	s_delay_alu instid0(SALU_CYCLE_1)
	s_cmp_gt_u32 s17, 7
	s_cbranch_scc1 .LBB6_41
; %bb.37:                               ;   in Loop: Header=BB6_29 Depth=1
	v_mov_b64_e32 v[12:13], 0
	s_cmp_eq_u32 s17, 0
	s_cbranch_scc1 .LBB6_40
; %bb.38:                               ;   in Loop: Header=BB6_29 Depth=1
	s_mov_b64 s[0:1], 0
	s_wait_xcnt 0x0
	s_mov_b64 s[12:13], 0
.LBB6_39:                               ;   Parent Loop BB6_29 Depth=1
                                        ; =>  This Inner Loop Header: Depth=2
	s_wait_xcnt 0x0
	s_add_nc_u64 s[18:19], s[10:11], s[12:13]
	s_add_nc_u64 s[12:13], s[12:13], 1
	global_load_u8 v1, v9, s[18:19]
	s_cmp_lg_u32 s17, s12
	s_wait_loadcnt 0x0
	v_and_b32_e32 v8, 0xffff, v1
	s_delay_alu instid0(VALU_DEP_1) | instskip(SKIP_1) | instid1(VALU_DEP_1)
	v_lshlrev_b64_e32 v[14:15], s0, v[8:9]
	s_add_nc_u64 s[0:1], s[0:1], 8
	v_or_b32_e32 v12, v14, v12
	s_delay_alu instid0(VALU_DEP_2)
	v_or_b32_e32 v13, v15, v13
	s_cbranch_scc1 .LBB6_39
.LBB6_40:                               ;   in Loop: Header=BB6_29 Depth=1
	s_wait_xcnt 0x0
	s_mov_b64 s[0:1], s[10:11]
	s_mov_b32 s18, 0
	s_cbranch_execz .LBB6_42
	s_branch .LBB6_43
.LBB6_41:                               ;   in Loop: Header=BB6_29 Depth=1
	s_add_nc_u64 s[0:1], s[10:11], 8
	s_wait_xcnt 0x0
                                        ; implicit-def: $vgpr12_vgpr13
	s_mov_b32 s18, 0
.LBB6_42:                               ;   in Loop: Header=BB6_29 Depth=1
	global_load_b64 v[12:13], v9, s[10:11]
	s_add_co_i32 s18, s17, -8
.LBB6_43:                               ;   in Loop: Header=BB6_29 Depth=1
	s_delay_alu instid0(SALU_CYCLE_1)
	s_cmp_gt_u32 s18, 7
	s_cbranch_scc1 .LBB6_48
; %bb.44:                               ;   in Loop: Header=BB6_29 Depth=1
	v_mov_b64_e32 v[14:15], 0
	s_cmp_eq_u32 s18, 0
	s_cbranch_scc1 .LBB6_47
; %bb.45:                               ;   in Loop: Header=BB6_29 Depth=1
	s_wait_xcnt 0x0
	s_mov_b64 s[10:11], 0
	s_mov_b64 s[12:13], 0
.LBB6_46:                               ;   Parent Loop BB6_29 Depth=1
                                        ; =>  This Inner Loop Header: Depth=2
	s_wait_xcnt 0x0
	s_add_nc_u64 s[20:21], s[0:1], s[12:13]
	s_add_nc_u64 s[12:13], s[12:13], 1
	global_load_u8 v1, v9, s[20:21]
	s_cmp_lg_u32 s18, s12
	s_wait_loadcnt 0x0
	v_and_b32_e32 v8, 0xffff, v1
	s_delay_alu instid0(VALU_DEP_1) | instskip(SKIP_1) | instid1(VALU_DEP_1)
	v_lshlrev_b64_e32 v[16:17], s10, v[8:9]
	s_add_nc_u64 s[10:11], s[10:11], 8
	v_or_b32_e32 v14, v16, v14
	s_delay_alu instid0(VALU_DEP_2)
	v_or_b32_e32 v15, v17, v15
	s_cbranch_scc1 .LBB6_46
.LBB6_47:                               ;   in Loop: Header=BB6_29 Depth=1
	s_wait_xcnt 0x0
	s_mov_b64 s[10:11], s[0:1]
	s_mov_b32 s17, 0
	s_cbranch_execz .LBB6_49
	s_branch .LBB6_50
.LBB6_48:                               ;   in Loop: Header=BB6_29 Depth=1
	s_wait_xcnt 0x0
	s_add_nc_u64 s[10:11], s[0:1], 8
	s_mov_b32 s17, 0
.LBB6_49:                               ;   in Loop: Header=BB6_29 Depth=1
	global_load_b64 v[14:15], v9, s[0:1]
	s_add_co_i32 s17, s18, -8
.LBB6_50:                               ;   in Loop: Header=BB6_29 Depth=1
	s_delay_alu instid0(SALU_CYCLE_1)
	s_cmp_gt_u32 s17, 7
	s_cbranch_scc1 .LBB6_55
; %bb.51:                               ;   in Loop: Header=BB6_29 Depth=1
	v_mov_b64_e32 v[16:17], 0
	s_cmp_eq_u32 s17, 0
	s_cbranch_scc1 .LBB6_54
; %bb.52:                               ;   in Loop: Header=BB6_29 Depth=1
	s_wait_xcnt 0x0
	s_mov_b64 s[0:1], 0
	s_mov_b64 s[12:13], 0
.LBB6_53:                               ;   Parent Loop BB6_29 Depth=1
                                        ; =>  This Inner Loop Header: Depth=2
	s_wait_xcnt 0x0
	s_add_nc_u64 s[18:19], s[10:11], s[12:13]
	s_add_nc_u64 s[12:13], s[12:13], 1
	global_load_u8 v1, v9, s[18:19]
	s_cmp_lg_u32 s17, s12
	s_wait_loadcnt 0x0
	v_and_b32_e32 v8, 0xffff, v1
	s_delay_alu instid0(VALU_DEP_1) | instskip(SKIP_1) | instid1(VALU_DEP_1)
	v_lshlrev_b64_e32 v[18:19], s0, v[8:9]
	s_add_nc_u64 s[0:1], s[0:1], 8
	v_or_b32_e32 v16, v18, v16
	s_delay_alu instid0(VALU_DEP_2)
	v_or_b32_e32 v17, v19, v17
	s_cbranch_scc1 .LBB6_53
.LBB6_54:                               ;   in Loop: Header=BB6_29 Depth=1
	s_wait_xcnt 0x0
	s_mov_b64 s[0:1], s[10:11]
	s_mov_b32 s18, 0
	s_cbranch_execz .LBB6_56
	s_branch .LBB6_57
.LBB6_55:                               ;   in Loop: Header=BB6_29 Depth=1
	s_wait_xcnt 0x0
	s_add_nc_u64 s[0:1], s[10:11], 8
                                        ; implicit-def: $vgpr16_vgpr17
	s_mov_b32 s18, 0
.LBB6_56:                               ;   in Loop: Header=BB6_29 Depth=1
	global_load_b64 v[16:17], v9, s[10:11]
	s_add_co_i32 s18, s17, -8
.LBB6_57:                               ;   in Loop: Header=BB6_29 Depth=1
	s_delay_alu instid0(SALU_CYCLE_1)
	s_cmp_gt_u32 s18, 7
	s_cbranch_scc1 .LBB6_62
; %bb.58:                               ;   in Loop: Header=BB6_29 Depth=1
	v_mov_b64_e32 v[18:19], 0
	s_cmp_eq_u32 s18, 0
	s_cbranch_scc1 .LBB6_61
; %bb.59:                               ;   in Loop: Header=BB6_29 Depth=1
	s_wait_xcnt 0x0
	s_mov_b64 s[10:11], 0
	s_mov_b64 s[12:13], 0
.LBB6_60:                               ;   Parent Loop BB6_29 Depth=1
                                        ; =>  This Inner Loop Header: Depth=2
	s_wait_xcnt 0x0
	s_add_nc_u64 s[20:21], s[0:1], s[12:13]
	s_add_nc_u64 s[12:13], s[12:13], 1
	global_load_u8 v1, v9, s[20:21]
	s_cmp_lg_u32 s18, s12
	s_wait_loadcnt 0x0
	v_and_b32_e32 v8, 0xffff, v1
	s_delay_alu instid0(VALU_DEP_1) | instskip(SKIP_1) | instid1(VALU_DEP_1)
	v_lshlrev_b64_e32 v[20:21], s10, v[8:9]
	s_add_nc_u64 s[10:11], s[10:11], 8
	v_or_b32_e32 v18, v20, v18
	s_delay_alu instid0(VALU_DEP_2)
	v_or_b32_e32 v19, v21, v19
	s_cbranch_scc1 .LBB6_60
.LBB6_61:                               ;   in Loop: Header=BB6_29 Depth=1
	s_wait_xcnt 0x0
	s_mov_b64 s[10:11], s[0:1]
	s_mov_b32 s17, 0
	s_cbranch_execz .LBB6_63
	s_branch .LBB6_64
.LBB6_62:                               ;   in Loop: Header=BB6_29 Depth=1
	s_wait_xcnt 0x0
	s_add_nc_u64 s[10:11], s[0:1], 8
	s_mov_b32 s17, 0
.LBB6_63:                               ;   in Loop: Header=BB6_29 Depth=1
	global_load_b64 v[18:19], v9, s[0:1]
	s_add_co_i32 s17, s18, -8
.LBB6_64:                               ;   in Loop: Header=BB6_29 Depth=1
	s_delay_alu instid0(SALU_CYCLE_1)
	s_cmp_gt_u32 s17, 7
	s_cbranch_scc1 .LBB6_69
; %bb.65:                               ;   in Loop: Header=BB6_29 Depth=1
	v_mov_b64_e32 v[20:21], 0
	s_cmp_eq_u32 s17, 0
	s_cbranch_scc1 .LBB6_68
; %bb.66:                               ;   in Loop: Header=BB6_29 Depth=1
	s_wait_xcnt 0x0
	s_mov_b64 s[0:1], 0
	s_mov_b64 s[12:13], 0
.LBB6_67:                               ;   Parent Loop BB6_29 Depth=1
                                        ; =>  This Inner Loop Header: Depth=2
	s_wait_xcnt 0x0
	s_add_nc_u64 s[18:19], s[10:11], s[12:13]
	s_add_nc_u64 s[12:13], s[12:13], 1
	global_load_u8 v1, v9, s[18:19]
	s_cmp_lg_u32 s17, s12
	s_wait_loadcnt 0x0
	v_and_b32_e32 v8, 0xffff, v1
	s_delay_alu instid0(VALU_DEP_1) | instskip(SKIP_1) | instid1(VALU_DEP_1)
	v_lshlrev_b64_e32 v[22:23], s0, v[8:9]
	s_add_nc_u64 s[0:1], s[0:1], 8
	v_or_b32_e32 v20, v22, v20
	s_delay_alu instid0(VALU_DEP_2)
	v_or_b32_e32 v21, v23, v21
	s_cbranch_scc1 .LBB6_67
.LBB6_68:                               ;   in Loop: Header=BB6_29 Depth=1
	s_wait_xcnt 0x0
	s_mov_b64 s[0:1], s[10:11]
	s_mov_b32 s18, 0
	s_cbranch_execz .LBB6_70
	s_branch .LBB6_71
.LBB6_69:                               ;   in Loop: Header=BB6_29 Depth=1
	s_wait_xcnt 0x0
	s_add_nc_u64 s[0:1], s[10:11], 8
                                        ; implicit-def: $vgpr20_vgpr21
	s_mov_b32 s18, 0
.LBB6_70:                               ;   in Loop: Header=BB6_29 Depth=1
	global_load_b64 v[20:21], v9, s[10:11]
	s_add_co_i32 s18, s17, -8
.LBB6_71:                               ;   in Loop: Header=BB6_29 Depth=1
	s_delay_alu instid0(SALU_CYCLE_1)
	s_cmp_gt_u32 s18, 7
	s_cbranch_scc1 .LBB6_76
; %bb.72:                               ;   in Loop: Header=BB6_29 Depth=1
	v_mov_b64_e32 v[22:23], 0
	s_cmp_eq_u32 s18, 0
	s_cbranch_scc1 .LBB6_75
; %bb.73:                               ;   in Loop: Header=BB6_29 Depth=1
	s_wait_xcnt 0x0
	s_mov_b64 s[10:11], 0
	s_mov_b64 s[12:13], s[0:1]
.LBB6_74:                               ;   Parent Loop BB6_29 Depth=1
                                        ; =>  This Inner Loop Header: Depth=2
	global_load_u8 v1, v9, s[12:13]
	s_add_co_i32 s18, s18, -1
	s_wait_xcnt 0x0
	s_add_nc_u64 s[12:13], s[12:13], 1
	s_cmp_lg_u32 s18, 0
	s_wait_loadcnt 0x0
	v_and_b32_e32 v8, 0xffff, v1
	s_delay_alu instid0(VALU_DEP_1) | instskip(SKIP_1) | instid1(VALU_DEP_1)
	v_lshlrev_b64_e32 v[24:25], s10, v[8:9]
	s_add_nc_u64 s[10:11], s[10:11], 8
	v_or_b32_e32 v22, v24, v22
	s_delay_alu instid0(VALU_DEP_2)
	v_or_b32_e32 v23, v25, v23
	s_cbranch_scc1 .LBB6_74
.LBB6_75:                               ;   in Loop: Header=BB6_29 Depth=1
	s_wait_xcnt 0x0
	s_cbranch_execz .LBB6_77
	s_branch .LBB6_78
.LBB6_76:                               ;   in Loop: Header=BB6_29 Depth=1
	s_wait_xcnt 0x0
.LBB6_77:                               ;   in Loop: Header=BB6_29 Depth=1
	global_load_b64 v[22:23], v9, s[0:1]
.LBB6_78:                               ;   in Loop: Header=BB6_29 Depth=1
	s_wait_xcnt 0x0
	v_readfirstlane_b32 s0, v29
	v_mov_b64_e32 v[30:31], 0
	s_delay_alu instid0(VALU_DEP_2)
	v_cmp_eq_u32_e64 s0, s0, v29
	s_and_saveexec_b32 s1, s0
	s_cbranch_execz .LBB6_84
; %bb.79:                               ;   in Loop: Header=BB6_29 Depth=1
	global_load_b64 v[26:27], v9, s[2:3] offset:24 scope:SCOPE_SYS
	s_wait_loadcnt 0x0
	global_inv scope:SCOPE_SYS
	s_clause 0x1
	global_load_b64 v[24:25], v9, s[2:3] offset:40
	global_load_b64 v[30:31], v9, s[2:3]
	s_mov_b32 s10, exec_lo
	s_wait_loadcnt 0x1
	v_and_b32_e32 v24, v24, v26
	v_and_b32_e32 v25, v25, v27
	s_delay_alu instid0(VALU_DEP_1) | instskip(SKIP_1) | instid1(VALU_DEP_1)
	v_mul_u64_e32 v[24:25], 24, v[24:25]
	s_wait_loadcnt 0x0
	v_add_nc_u64_e32 v[24:25], v[30:31], v[24:25]
	global_load_b64 v[24:25], v[24:25], off scope:SCOPE_SYS
	s_wait_xcnt 0x0
	s_wait_loadcnt 0x0
	global_atomic_cmpswap_b64 v[30:31], v9, v[24:27], s[2:3] offset:24 th:TH_ATOMIC_RETURN scope:SCOPE_SYS
	s_wait_loadcnt 0x0
	global_inv scope:SCOPE_SYS
	s_wait_xcnt 0x0
	v_cmpx_ne_u64_e64 v[30:31], v[26:27]
	s_cbranch_execz .LBB6_83
; %bb.80:                               ;   in Loop: Header=BB6_29 Depth=1
	s_mov_b32 s11, 0
.LBB6_81:                               ;   Parent Loop BB6_29 Depth=1
                                        ; =>  This Inner Loop Header: Depth=2
	s_sleep 1
	s_clause 0x1
	global_load_b64 v[24:25], v9, s[2:3] offset:40
	global_load_b64 v[32:33], v9, s[2:3]
	v_mov_b64_e32 v[26:27], v[30:31]
	s_wait_loadcnt 0x1
	s_delay_alu instid0(VALU_DEP_1) | instskip(SKIP_1) | instid1(VALU_DEP_1)
	v_and_b32_e32 v1, v24, v26
	s_wait_loadcnt 0x0
	v_mad_nc_u64_u32 v[30:31], v1, 24, v[32:33]
	s_delay_alu instid0(VALU_DEP_3) | instskip(NEXT) | instid1(VALU_DEP_1)
	v_and_b32_e32 v1, v25, v27
	v_mad_u32 v31, v1, 24, v31
	global_load_b64 v[24:25], v[30:31], off scope:SCOPE_SYS
	s_wait_xcnt 0x0
	s_wait_loadcnt 0x0
	global_atomic_cmpswap_b64 v[30:31], v9, v[24:27], s[2:3] offset:24 th:TH_ATOMIC_RETURN scope:SCOPE_SYS
	s_wait_loadcnt 0x0
	global_inv scope:SCOPE_SYS
	v_cmp_eq_u64_e32 vcc_lo, v[30:31], v[26:27]
	s_or_b32 s11, vcc_lo, s11
	s_wait_xcnt 0x0
	s_and_not1_b32 exec_lo, exec_lo, s11
	s_cbranch_execnz .LBB6_81
; %bb.82:                               ;   in Loop: Header=BB6_29 Depth=1
	s_or_b32 exec_lo, exec_lo, s11
.LBB6_83:                               ;   in Loop: Header=BB6_29 Depth=1
	s_delay_alu instid0(SALU_CYCLE_1)
	s_or_b32 exec_lo, exec_lo, s10
.LBB6_84:                               ;   in Loop: Header=BB6_29 Depth=1
	s_delay_alu instid0(SALU_CYCLE_1)
	s_or_b32 exec_lo, exec_lo, s1
	s_clause 0x1
	global_load_b64 v[32:33], v9, s[2:3] offset:40
	global_load_b128 v[24:27], v9, s[2:3]
	v_readfirstlane_b32 s10, v30
	v_readfirstlane_b32 s11, v31
	s_mov_b32 s1, exec_lo
	s_wait_loadcnt 0x1
	v_and_b32_e32 v32, s10, v32
	v_and_b32_e32 v33, s11, v33
	s_delay_alu instid0(VALU_DEP_1) | instskip(SKIP_1) | instid1(VALU_DEP_1)
	v_mul_u64_e32 v[30:31], 24, v[32:33]
	s_wait_loadcnt 0x0
	v_add_nc_u64_e32 v[30:31], v[24:25], v[30:31]
	s_wait_xcnt 0x0
	s_and_saveexec_b32 s12, s0
	s_cbranch_execz .LBB6_86
; %bb.85:                               ;   in Loop: Header=BB6_29 Depth=1
	v_mov_b32_e32 v8, s1
	global_store_b128 v[30:31], v[8:11], off offset:8
.LBB6_86:                               ;   in Loop: Header=BB6_29 Depth=1
	s_wait_xcnt 0x0
	s_or_b32 exec_lo, exec_lo, s12
	v_cmp_lt_u64_e64 vcc_lo, s[6:7], 57
	v_lshlrev_b64_e32 v[32:33], 12, v[32:33]
	v_and_b32_e32 v4, 0xffffff1f, v4
	s_lshl_b32 s1, s8, 2
	s_delay_alu instid0(SALU_CYCLE_1) | instskip(SKIP_1) | instid1(VALU_DEP_3)
	s_add_co_i32 s1, s1, 28
	v_cndmask_b32_e32 v1, 0, v28, vcc_lo
	v_add_nc_u64_e32 v[26:27], v[26:27], v[32:33]
	s_delay_alu instid0(VALU_DEP_2) | instskip(NEXT) | instid1(VALU_DEP_2)
	v_or_b32_e32 v1, v4, v1
	v_readfirstlane_b32 s12, v26
	s_delay_alu instid0(VALU_DEP_3) | instskip(NEXT) | instid1(VALU_DEP_3)
	v_readfirstlane_b32 s13, v27
	v_and_or_b32 v4, 0x1e0, s1, v1
	s_clause 0x3
	global_store_b128 v0, v[4:7], s[12:13]
	global_store_b128 v0, v[12:15], s[12:13] offset:16
	global_store_b128 v0, v[16:19], s[12:13] offset:32
	;; [unrolled: 1-line block ×3, first 2 shown]
	s_wait_xcnt 0x0
	s_and_saveexec_b32 s1, s0
	s_cbranch_execz .LBB6_94
; %bb.87:                               ;   in Loop: Header=BB6_29 Depth=1
	s_clause 0x1
	global_load_b64 v[16:17], v9, s[2:3] offset:32 scope:SCOPE_SYS
	global_load_b64 v[4:5], v9, s[2:3] offset:40
	s_mov_b32 s12, exec_lo
	v_dual_mov_b32 v14, s10 :: v_dual_mov_b32 v15, s11
	s_wait_loadcnt 0x0
	v_and_b32_e32 v5, s11, v5
	v_and_b32_e32 v4, s10, v4
	s_delay_alu instid0(VALU_DEP_1) | instskip(NEXT) | instid1(VALU_DEP_1)
	v_mul_u64_e32 v[4:5], 24, v[4:5]
	v_add_nc_u64_e32 v[12:13], v[24:25], v[4:5]
	global_store_b64 v[12:13], v[16:17], off
	global_wb scope:SCOPE_SYS
	s_wait_storecnt 0x0
	s_wait_xcnt 0x0
	global_atomic_cmpswap_b64 v[6:7], v9, v[14:17], s[2:3] offset:32 th:TH_ATOMIC_RETURN scope:SCOPE_SYS
	s_wait_loadcnt 0x0
	v_cmpx_ne_u64_e64 v[6:7], v[16:17]
	s_cbranch_execz .LBB6_90
; %bb.88:                               ;   in Loop: Header=BB6_29 Depth=1
	s_mov_b32 s13, 0
.LBB6_89:                               ;   Parent Loop BB6_29 Depth=1
                                        ; =>  This Inner Loop Header: Depth=2
	v_dual_mov_b32 v4, s10 :: v_dual_mov_b32 v5, s11
	s_sleep 1
	global_store_b64 v[12:13], v[6:7], off
	global_wb scope:SCOPE_SYS
	s_wait_storecnt 0x0
	s_wait_xcnt 0x0
	global_atomic_cmpswap_b64 v[4:5], v9, v[4:7], s[2:3] offset:32 th:TH_ATOMIC_RETURN scope:SCOPE_SYS
	s_wait_loadcnt 0x0
	v_cmp_eq_u64_e32 vcc_lo, v[4:5], v[6:7]
	v_mov_b64_e32 v[6:7], v[4:5]
	s_or_b32 s13, vcc_lo, s13
	s_delay_alu instid0(SALU_CYCLE_1)
	s_and_not1_b32 exec_lo, exec_lo, s13
	s_cbranch_execnz .LBB6_89
.LBB6_90:                               ;   in Loop: Header=BB6_29 Depth=1
	s_or_b32 exec_lo, exec_lo, s12
	global_load_b64 v[4:5], v9, s[2:3] offset:16
	s_mov_b32 s13, exec_lo
	s_mov_b32 s12, exec_lo
	v_mbcnt_lo_u32_b32 v1, s13, 0
	s_wait_xcnt 0x0
	s_delay_alu instid0(VALU_DEP_1)
	v_cmpx_eq_u32_e32 0, v1
	s_cbranch_execz .LBB6_92
; %bb.91:                               ;   in Loop: Header=BB6_29 Depth=1
	s_bcnt1_i32_b32 s13, s13
	s_delay_alu instid0(SALU_CYCLE_1)
	v_mov_b32_e32 v8, s13
	global_wb scope:SCOPE_SYS
	s_wait_loadcnt 0x0
	s_wait_storecnt 0x0
	global_atomic_add_u64 v[4:5], v[8:9], off offset:8 scope:SCOPE_SYS
.LBB6_92:                               ;   in Loop: Header=BB6_29 Depth=1
	s_wait_xcnt 0x0
	s_or_b32 exec_lo, exec_lo, s12
	s_wait_loadcnt 0x0
	global_load_b64 v[6:7], v[4:5], off offset:16
	s_wait_loadcnt 0x0
	v_cmp_eq_u64_e32 vcc_lo, 0, v[6:7]
	s_cbranch_vccnz .LBB6_94
; %bb.93:                               ;   in Loop: Header=BB6_29 Depth=1
	global_load_b32 v8, v[4:5], off offset:24
	s_wait_loadcnt 0x0
	v_readfirstlane_b32 s12, v8
	global_wb scope:SCOPE_SYS
	s_wait_storecnt 0x0
	s_wait_xcnt 0x0
	global_store_b64 v[6:7], v[8:9], off scope:SCOPE_SYS
	s_and_b32 m0, s12, 0xffffff
	s_sendmsg sendmsg(MSG_INTERRUPT)
.LBB6_94:                               ;   in Loop: Header=BB6_29 Depth=1
	s_wait_xcnt 0x0
	s_or_b32 exec_lo, exec_lo, s1
	v_mov_b32_e32 v1, v9
	s_delay_alu instid0(VALU_DEP_1)
	v_add_nc_u64_e32 v[4:5], v[26:27], v[0:1]
	s_branch .LBB6_98
.LBB6_95:                               ;   in Loop: Header=BB6_98 Depth=2
	s_wait_xcnt 0x0
	s_or_b32 exec_lo, exec_lo, s1
	s_delay_alu instid0(VALU_DEP_1)
	v_readfirstlane_b32 s1, v1
	s_cmp_eq_u32 s1, 0
	s_cbranch_scc1 .LBB6_97
; %bb.96:                               ;   in Loop: Header=BB6_98 Depth=2
	s_sleep 1
	s_cbranch_execnz .LBB6_98
	s_branch .LBB6_100
.LBB6_97:                               ;   in Loop: Header=BB6_29 Depth=1
	s_branch .LBB6_100
.LBB6_98:                               ;   Parent Loop BB6_29 Depth=1
                                        ; =>  This Inner Loop Header: Depth=2
	v_mov_b32_e32 v1, 1
	s_and_saveexec_b32 s1, s0
	s_cbranch_execz .LBB6_95
; %bb.99:                               ;   in Loop: Header=BB6_98 Depth=2
	global_load_b32 v1, v[30:31], off offset:20 scope:SCOPE_SYS
	s_wait_loadcnt 0x0
	global_inv scope:SCOPE_SYS
	v_and_b32_e32 v1, 1, v1
	s_branch .LBB6_95
.LBB6_100:                              ;   in Loop: Header=BB6_29 Depth=1
	global_load_b64 v[4:5], v[4:5], off
	s_wait_xcnt 0x0
	s_and_saveexec_b32 s12, s0
	s_cbranch_execz .LBB6_28
; %bb.101:                              ;   in Loop: Header=BB6_29 Depth=1
	s_clause 0x2
	global_load_b64 v[6:7], v9, s[2:3] offset:40
	global_load_b64 v[16:17], v9, s[2:3] offset:24 scope:SCOPE_SYS
	global_load_b64 v[12:13], v9, s[2:3]
	s_wait_loadcnt 0x2
	v_readfirstlane_b32 s18, v6
	v_readfirstlane_b32 s19, v7
	s_add_nc_u64 s[0:1], s[18:19], 1
	s_delay_alu instid0(SALU_CYCLE_1) | instskip(NEXT) | instid1(SALU_CYCLE_1)
	s_add_nc_u64 s[10:11], s[0:1], s[10:11]
	s_cmp_eq_u64 s[10:11], 0
	s_cselect_b32 s1, s1, s11
	s_cselect_b32 s0, s0, s10
	s_delay_alu instid0(SALU_CYCLE_1) | instskip(SKIP_1) | instid1(SALU_CYCLE_1)
	v_dual_mov_b32 v15, s1 :: v_dual_mov_b32 v14, s0
	s_and_b64 s[10:11], s[0:1], s[18:19]
	s_mul_u64 s[10:11], s[10:11], 24
	s_wait_loadcnt 0x0
	v_add_nc_u64_e32 v[6:7], s[10:11], v[12:13]
	global_store_b64 v[6:7], v[16:17], off
	global_wb scope:SCOPE_SYS
	s_wait_storecnt 0x0
	s_wait_xcnt 0x0
	global_atomic_cmpswap_b64 v[14:15], v9, v[14:17], s[2:3] offset:24 th:TH_ATOMIC_RETURN scope:SCOPE_SYS
	s_wait_loadcnt 0x0
	v_cmp_ne_u64_e32 vcc_lo, v[14:15], v[16:17]
	s_and_b32 exec_lo, exec_lo, vcc_lo
	s_cbranch_execz .LBB6_28
; %bb.102:                              ;   in Loop: Header=BB6_29 Depth=1
	s_mov_b32 s10, 0
.LBB6_103:                              ;   Parent Loop BB6_29 Depth=1
                                        ; =>  This Inner Loop Header: Depth=2
	v_dual_mov_b32 v12, s0 :: v_dual_mov_b32 v13, s1
	s_sleep 1
	global_store_b64 v[6:7], v[14:15], off
	global_wb scope:SCOPE_SYS
	s_wait_storecnt 0x0
	s_wait_xcnt 0x0
	global_atomic_cmpswap_b64 v[12:13], v9, v[12:15], s[2:3] offset:24 th:TH_ATOMIC_RETURN scope:SCOPE_SYS
	s_wait_loadcnt 0x0
	v_cmp_eq_u64_e32 vcc_lo, v[12:13], v[14:15]
	v_mov_b64_e32 v[14:15], v[12:13]
	s_or_b32 s10, vcc_lo, s10
	s_delay_alu instid0(SALU_CYCLE_1)
	s_and_not1_b32 exec_lo, exec_lo, s10
	s_cbranch_execnz .LBB6_103
	s_branch .LBB6_28
.LBB6_104:
	s_branch .LBB6_133
.LBB6_105:
                                        ; implicit-def: $vgpr4_vgpr5
	s_cbranch_execz .LBB6_133
; %bb.106:
	v_readfirstlane_b32 s0, v29
	s_wait_loadcnt 0x0
	v_mov_b64_e32 v[4:5], 0
	s_delay_alu instid0(VALU_DEP_2)
	v_cmp_eq_u32_e64 s0, s0, v29
	s_and_saveexec_b32 s1, s0
	s_cbranch_execz .LBB6_112
; %bb.107:
	v_mov_b32_e32 v1, 0
	s_mov_b32 s4, exec_lo
	global_load_b64 v[6:7], v1, s[2:3] offset:24 scope:SCOPE_SYS
	s_wait_loadcnt 0x0
	global_inv scope:SCOPE_SYS
	s_clause 0x1
	global_load_b64 v[4:5], v1, s[2:3] offset:40
	global_load_b64 v[8:9], v1, s[2:3]
	s_wait_loadcnt 0x1
	v_and_b32_e32 v4, v4, v6
	v_and_b32_e32 v5, v5, v7
	s_delay_alu instid0(VALU_DEP_1) | instskip(SKIP_1) | instid1(VALU_DEP_1)
	v_mul_u64_e32 v[4:5], 24, v[4:5]
	s_wait_loadcnt 0x0
	v_add_nc_u64_e32 v[4:5], v[8:9], v[4:5]
	global_load_b64 v[4:5], v[4:5], off scope:SCOPE_SYS
	s_wait_xcnt 0x0
	s_wait_loadcnt 0x0
	global_atomic_cmpswap_b64 v[4:5], v1, v[4:7], s[2:3] offset:24 th:TH_ATOMIC_RETURN scope:SCOPE_SYS
	s_wait_loadcnt 0x0
	global_inv scope:SCOPE_SYS
	s_wait_xcnt 0x0
	v_cmpx_ne_u64_e64 v[4:5], v[6:7]
	s_cbranch_execz .LBB6_111
; %bb.108:
	s_mov_b32 s5, 0
.LBB6_109:                              ; =>This Inner Loop Header: Depth=1
	s_sleep 1
	s_clause 0x1
	global_load_b64 v[8:9], v1, s[2:3] offset:40
	global_load_b64 v[10:11], v1, s[2:3]
	v_mov_b64_e32 v[6:7], v[4:5]
	s_wait_loadcnt 0x1
	s_delay_alu instid0(VALU_DEP_1) | instskip(NEXT) | instid1(VALU_DEP_2)
	v_and_b32_e32 v4, v8, v6
	v_and_b32_e32 v8, v9, v7
	s_wait_loadcnt 0x0
	s_delay_alu instid0(VALU_DEP_2) | instskip(NEXT) | instid1(VALU_DEP_1)
	v_mad_nc_u64_u32 v[4:5], v4, 24, v[10:11]
	v_mad_u32 v5, v8, 24, v5
	global_load_b64 v[4:5], v[4:5], off scope:SCOPE_SYS
	s_wait_xcnt 0x0
	s_wait_loadcnt 0x0
	global_atomic_cmpswap_b64 v[4:5], v1, v[4:7], s[2:3] offset:24 th:TH_ATOMIC_RETURN scope:SCOPE_SYS
	s_wait_loadcnt 0x0
	global_inv scope:SCOPE_SYS
	v_cmp_eq_u64_e32 vcc_lo, v[4:5], v[6:7]
	s_or_b32 s5, vcc_lo, s5
	s_wait_xcnt 0x0
	s_and_not1_b32 exec_lo, exec_lo, s5
	s_cbranch_execnz .LBB6_109
; %bb.110:
	s_or_b32 exec_lo, exec_lo, s5
.LBB6_111:
	s_delay_alu instid0(SALU_CYCLE_1)
	s_or_b32 exec_lo, exec_lo, s4
.LBB6_112:
	s_delay_alu instid0(SALU_CYCLE_1)
	s_or_b32 exec_lo, exec_lo, s1
	v_readfirstlane_b32 s4, v4
	v_mov_b32_e32 v1, 0
	v_readfirstlane_b32 s5, v5
	s_mov_b32 s1, exec_lo
	s_clause 0x1
	global_load_b64 v[10:11], v1, s[2:3] offset:40
	global_load_b128 v[6:9], v1, s[2:3]
	s_wait_loadcnt 0x1
	v_and_b32_e32 v4, s4, v10
	v_and_b32_e32 v5, s5, v11
	s_delay_alu instid0(VALU_DEP_1) | instskip(SKIP_1) | instid1(VALU_DEP_1)
	v_mul_u64_e32 v[10:11], 24, v[4:5]
	s_wait_loadcnt 0x0
	v_add_nc_u64_e32 v[10:11], v[6:7], v[10:11]
	s_wait_xcnt 0x0
	s_and_saveexec_b32 s6, s0
	s_cbranch_execz .LBB6_114
; %bb.113:
	v_mov_b64_e32 v[14:15], 0x100000002
	v_dual_mov_b32 v12, s1 :: v_dual_mov_b32 v13, v1
	global_store_b128 v[10:11], v[12:15], off offset:8
.LBB6_114:
	s_wait_xcnt 0x0
	s_or_b32 exec_lo, exec_lo, s6
	v_lshlrev_b64_e32 v[4:5], 12, v[4:5]
	s_mov_b32 s8, 0
	v_and_or_b32 v2, 0xffffff1f, v2, 32
	s_mov_b32 s10, s8
	s_mov_b32 s11, s8
	;; [unrolled: 1-line block ×3, first 2 shown]
	v_mov_b64_e32 v[14:15], s[10:11]
	v_add_nc_u64_e32 v[8:9], v[8:9], v[4:5]
	v_mov_b64_e32 v[12:13], s[8:9]
	v_dual_mov_b32 v4, v1 :: v_dual_mov_b32 v5, v1
	s_delay_alu instid0(VALU_DEP_3) | instskip(NEXT) | instid1(VALU_DEP_4)
	v_readfirstlane_b32 s6, v8
	v_readfirstlane_b32 s7, v9
	s_clause 0x3
	global_store_b128 v0, v[2:5], s[6:7]
	global_store_b128 v0, v[12:15], s[6:7] offset:16
	global_store_b128 v0, v[12:15], s[6:7] offset:32
	;; [unrolled: 1-line block ×3, first 2 shown]
	s_wait_xcnt 0x0
	s_and_saveexec_b32 s1, s0
	s_cbranch_execz .LBB6_122
; %bb.115:
	v_dual_mov_b32 v12, 0 :: v_dual_mov_b32 v15, s5
	s_mov_b32 s6, exec_lo
	s_clause 0x1
	global_load_b64 v[16:17], v12, s[2:3] offset:32 scope:SCOPE_SYS
	global_load_b64 v[2:3], v12, s[2:3] offset:40
	s_wait_loadcnt 0x0
	v_dual_mov_b32 v14, s4 :: v_dual_bitop2_b32 v3, s5, v3 bitop3:0x40
	v_and_b32_e32 v2, s4, v2
	s_delay_alu instid0(VALU_DEP_1) | instskip(NEXT) | instid1(VALU_DEP_1)
	v_mul_u64_e32 v[2:3], 24, v[2:3]
	v_add_nc_u64_e32 v[6:7], v[6:7], v[2:3]
	global_store_b64 v[6:7], v[16:17], off
	global_wb scope:SCOPE_SYS
	s_wait_storecnt 0x0
	s_wait_xcnt 0x0
	global_atomic_cmpswap_b64 v[4:5], v12, v[14:17], s[2:3] offset:32 th:TH_ATOMIC_RETURN scope:SCOPE_SYS
	s_wait_loadcnt 0x0
	v_cmpx_ne_u64_e64 v[4:5], v[16:17]
	s_cbranch_execz .LBB6_118
; %bb.116:
	s_mov_b32 s7, 0
.LBB6_117:                              ; =>This Inner Loop Header: Depth=1
	v_dual_mov_b32 v2, s4 :: v_dual_mov_b32 v3, s5
	s_sleep 1
	global_store_b64 v[6:7], v[4:5], off
	global_wb scope:SCOPE_SYS
	s_wait_storecnt 0x0
	s_wait_xcnt 0x0
	global_atomic_cmpswap_b64 v[2:3], v12, v[2:5], s[2:3] offset:32 th:TH_ATOMIC_RETURN scope:SCOPE_SYS
	s_wait_loadcnt 0x0
	v_cmp_eq_u64_e32 vcc_lo, v[2:3], v[4:5]
	v_mov_b64_e32 v[4:5], v[2:3]
	s_or_b32 s7, vcc_lo, s7
	s_delay_alu instid0(SALU_CYCLE_1)
	s_and_not1_b32 exec_lo, exec_lo, s7
	s_cbranch_execnz .LBB6_117
.LBB6_118:
	s_or_b32 exec_lo, exec_lo, s6
	v_mov_b32_e32 v5, 0
	s_mov_b32 s7, exec_lo
	s_mov_b32 s6, exec_lo
	v_mbcnt_lo_u32_b32 v4, s7, 0
	global_load_b64 v[2:3], v5, s[2:3] offset:16
	s_wait_xcnt 0x0
	v_cmpx_eq_u32_e32 0, v4
	s_cbranch_execz .LBB6_120
; %bb.119:
	s_bcnt1_i32_b32 s7, s7
	s_delay_alu instid0(SALU_CYCLE_1)
	v_mov_b32_e32 v4, s7
	global_wb scope:SCOPE_SYS
	s_wait_loadcnt 0x0
	s_wait_storecnt 0x0
	global_atomic_add_u64 v[2:3], v[4:5], off offset:8 scope:SCOPE_SYS
.LBB6_120:
	s_wait_xcnt 0x0
	s_or_b32 exec_lo, exec_lo, s6
	s_wait_loadcnt 0x0
	global_load_b64 v[4:5], v[2:3], off offset:16
	s_wait_loadcnt 0x0
	v_cmp_eq_u64_e32 vcc_lo, 0, v[4:5]
	s_cbranch_vccnz .LBB6_122
; %bb.121:
	global_load_b32 v2, v[2:3], off offset:24
	s_wait_xcnt 0x0
	v_mov_b32_e32 v3, 0
	s_wait_loadcnt 0x0
	v_readfirstlane_b32 s6, v2
	global_wb scope:SCOPE_SYS
	s_wait_storecnt 0x0
	global_store_b64 v[4:5], v[2:3], off scope:SCOPE_SYS
	s_and_b32 m0, s6, 0xffffff
	s_sendmsg sendmsg(MSG_INTERRUPT)
.LBB6_122:
	s_wait_xcnt 0x0
	s_or_b32 exec_lo, exec_lo, s1
	v_add_nc_u64_e32 v[2:3], v[8:9], v[0:1]
	s_branch .LBB6_126
.LBB6_123:                              ;   in Loop: Header=BB6_126 Depth=1
	s_wait_xcnt 0x0
	s_or_b32 exec_lo, exec_lo, s1
	s_delay_alu instid0(VALU_DEP_1)
	v_readfirstlane_b32 s1, v1
	s_cmp_eq_u32 s1, 0
	s_cbranch_scc1 .LBB6_125
; %bb.124:                              ;   in Loop: Header=BB6_126 Depth=1
	s_sleep 1
	s_cbranch_execnz .LBB6_126
	s_branch .LBB6_128
.LBB6_125:
	s_branch .LBB6_128
.LBB6_126:                              ; =>This Inner Loop Header: Depth=1
	v_mov_b32_e32 v1, 1
	s_and_saveexec_b32 s1, s0
	s_cbranch_execz .LBB6_123
; %bb.127:                              ;   in Loop: Header=BB6_126 Depth=1
	global_load_b32 v1, v[10:11], off offset:20 scope:SCOPE_SYS
	s_wait_loadcnt 0x0
	global_inv scope:SCOPE_SYS
	v_and_b32_e32 v1, 1, v1
	s_branch .LBB6_123
.LBB6_128:
	global_load_b64 v[4:5], v[2:3], off
	s_wait_xcnt 0x0
	s_and_saveexec_b32 s6, s0
	s_cbranch_execz .LBB6_132
; %bb.129:
	v_mov_b32_e32 v1, 0
	s_clause 0x2
	global_load_b64 v[2:3], v1, s[2:3] offset:40
	global_load_b64 v[10:11], v1, s[2:3] offset:24 scope:SCOPE_SYS
	global_load_b64 v[6:7], v1, s[2:3]
	s_wait_loadcnt 0x2
	v_readfirstlane_b32 s8, v2
	v_readfirstlane_b32 s9, v3
	s_add_nc_u64 s[0:1], s[8:9], 1
	s_delay_alu instid0(SALU_CYCLE_1) | instskip(NEXT) | instid1(SALU_CYCLE_1)
	s_add_nc_u64 s[4:5], s[0:1], s[4:5]
	s_cmp_eq_u64 s[4:5], 0
	s_cselect_b32 s1, s1, s5
	s_cselect_b32 s0, s0, s4
	v_mov_b32_e32 v9, s1
	s_and_b64 s[4:5], s[0:1], s[8:9]
	v_mov_b32_e32 v8, s0
	s_mul_u64 s[4:5], s[4:5], 24
	s_wait_loadcnt 0x0
	v_add_nc_u64_e32 v[2:3], s[4:5], v[6:7]
	global_store_b64 v[2:3], v[10:11], off
	global_wb scope:SCOPE_SYS
	s_wait_storecnt 0x0
	s_wait_xcnt 0x0
	global_atomic_cmpswap_b64 v[8:9], v1, v[8:11], s[2:3] offset:24 th:TH_ATOMIC_RETURN scope:SCOPE_SYS
	s_wait_loadcnt 0x0
	v_cmp_ne_u64_e32 vcc_lo, v[8:9], v[10:11]
	s_and_b32 exec_lo, exec_lo, vcc_lo
	s_cbranch_execz .LBB6_132
; %bb.130:
	s_mov_b32 s4, 0
.LBB6_131:                              ; =>This Inner Loop Header: Depth=1
	v_dual_mov_b32 v6, s0 :: v_dual_mov_b32 v7, s1
	s_sleep 1
	global_store_b64 v[2:3], v[8:9], off
	global_wb scope:SCOPE_SYS
	s_wait_storecnt 0x0
	s_wait_xcnt 0x0
	global_atomic_cmpswap_b64 v[6:7], v1, v[6:9], s[2:3] offset:24 th:TH_ATOMIC_RETURN scope:SCOPE_SYS
	s_wait_loadcnt 0x0
	v_cmp_eq_u64_e32 vcc_lo, v[6:7], v[8:9]
	v_mov_b64_e32 v[8:9], v[6:7]
	s_or_b32 s4, vcc_lo, s4
	s_delay_alu instid0(SALU_CYCLE_1)
	s_and_not1_b32 exec_lo, exec_lo, s4
	s_cbranch_execnz .LBB6_131
.LBB6_132:
	s_or_b32 exec_lo, exec_lo, s6
.LBB6_133:
	v_readfirstlane_b32 s0, v29
	s_wait_loadcnt 0x0
	v_mov_b64_e32 v[2:3], 0
	s_delay_alu instid0(VALU_DEP_2)
	v_cmp_eq_u32_e64 s0, s0, v29
	s_and_saveexec_b32 s1, s0
	s_cbranch_execz .LBB6_139
; %bb.134:
	v_mov_b32_e32 v1, 0
	s_mov_b32 s4, exec_lo
	global_load_b64 v[8:9], v1, s[2:3] offset:24 scope:SCOPE_SYS
	s_wait_loadcnt 0x0
	global_inv scope:SCOPE_SYS
	s_clause 0x1
	global_load_b64 v[2:3], v1, s[2:3] offset:40
	global_load_b64 v[6:7], v1, s[2:3]
	s_wait_loadcnt 0x1
	v_and_b32_e32 v2, v2, v8
	v_and_b32_e32 v3, v3, v9
	s_delay_alu instid0(VALU_DEP_1) | instskip(SKIP_1) | instid1(VALU_DEP_1)
	v_mul_u64_e32 v[2:3], 24, v[2:3]
	s_wait_loadcnt 0x0
	v_add_nc_u64_e32 v[2:3], v[6:7], v[2:3]
	global_load_b64 v[6:7], v[2:3], off scope:SCOPE_SYS
	s_wait_xcnt 0x0
	s_wait_loadcnt 0x0
	global_atomic_cmpswap_b64 v[2:3], v1, v[6:9], s[2:3] offset:24 th:TH_ATOMIC_RETURN scope:SCOPE_SYS
	s_wait_loadcnt 0x0
	global_inv scope:SCOPE_SYS
	s_wait_xcnt 0x0
	v_cmpx_ne_u64_e64 v[2:3], v[8:9]
	s_cbranch_execz .LBB6_138
; %bb.135:
	s_mov_b32 s5, 0
.LBB6_136:                              ; =>This Inner Loop Header: Depth=1
	s_sleep 1
	s_clause 0x1
	global_load_b64 v[6:7], v1, s[2:3] offset:40
	global_load_b64 v[10:11], v1, s[2:3]
	v_mov_b64_e32 v[8:9], v[2:3]
	s_wait_loadcnt 0x1
	s_delay_alu instid0(VALU_DEP_1) | instskip(NEXT) | instid1(VALU_DEP_2)
	v_and_b32_e32 v2, v6, v8
	v_and_b32_e32 v6, v7, v9
	s_wait_loadcnt 0x0
	s_delay_alu instid0(VALU_DEP_2) | instskip(NEXT) | instid1(VALU_DEP_1)
	v_mad_nc_u64_u32 v[2:3], v2, 24, v[10:11]
	v_mad_u32 v3, v6, 24, v3
	global_load_b64 v[6:7], v[2:3], off scope:SCOPE_SYS
	s_wait_xcnt 0x0
	s_wait_loadcnt 0x0
	global_atomic_cmpswap_b64 v[2:3], v1, v[6:9], s[2:3] offset:24 th:TH_ATOMIC_RETURN scope:SCOPE_SYS
	s_wait_loadcnt 0x0
	global_inv scope:SCOPE_SYS
	v_cmp_eq_u64_e32 vcc_lo, v[2:3], v[8:9]
	s_or_b32 s5, vcc_lo, s5
	s_wait_xcnt 0x0
	s_and_not1_b32 exec_lo, exec_lo, s5
	s_cbranch_execnz .LBB6_136
; %bb.137:
	s_or_b32 exec_lo, exec_lo, s5
.LBB6_138:
	s_delay_alu instid0(SALU_CYCLE_1)
	s_or_b32 exec_lo, exec_lo, s4
.LBB6_139:
	s_delay_alu instid0(SALU_CYCLE_1)
	s_or_b32 exec_lo, exec_lo, s1
	v_readfirstlane_b32 s4, v2
	v_mov_b32_e32 v1, 0
	v_readfirstlane_b32 s5, v3
	s_mov_b32 s1, exec_lo
	s_clause 0x1
	global_load_b64 v[6:7], v1, s[2:3] offset:40
	global_load_b128 v[8:11], v1, s[2:3]
	s_wait_loadcnt 0x1
	v_and_b32_e32 v2, s4, v6
	v_and_b32_e32 v3, s5, v7
	s_delay_alu instid0(VALU_DEP_1) | instskip(SKIP_1) | instid1(VALU_DEP_1)
	v_mul_u64_e32 v[6:7], 24, v[2:3]
	s_wait_loadcnt 0x0
	v_add_nc_u64_e32 v[12:13], v[8:9], v[6:7]
	s_wait_xcnt 0x0
	s_and_saveexec_b32 s6, s0
	s_cbranch_execz .LBB6_141
; %bb.140:
	v_mov_b64_e32 v[16:17], 0x100000002
	v_dual_mov_b32 v14, s1 :: v_dual_mov_b32 v15, v1
	global_store_b128 v[12:13], v[14:17], off offset:8
.LBB6_141:
	s_wait_xcnt 0x0
	s_or_b32 exec_lo, exec_lo, s6
	v_lshlrev_b64_e32 v[2:3], 12, v[2:3]
	s_mov_b32 s8, 0
	v_and_or_b32 v4, 0xffffff1f, v4, 32
	s_mov_b32 s10, s8
	s_mov_b32 s11, s8
	;; [unrolled: 1-line block ×3, first 2 shown]
	v_mov_b64_e32 v[16:17], s[10:11]
	v_add_nc_u64_e32 v[10:11], v[10:11], v[2:3]
	v_mov_b64_e32 v[14:15], s[8:9]
	v_dual_mov_b32 v6, s16 :: v_dual_mov_b32 v7, v1
	s_delay_alu instid0(VALU_DEP_3) | instskip(NEXT) | instid1(VALU_DEP_4)
	v_readfirstlane_b32 s6, v10
	v_readfirstlane_b32 s7, v11
	s_clause 0x3
	global_store_b128 v0, v[4:7], s[6:7]
	global_store_b128 v0, v[14:17], s[6:7] offset:16
	global_store_b128 v0, v[14:17], s[6:7] offset:32
	;; [unrolled: 1-line block ×3, first 2 shown]
	s_wait_xcnt 0x0
	s_and_saveexec_b32 s1, s0
	s_cbranch_execz .LBB6_149
; %bb.142:
	v_dual_mov_b32 v14, 0 :: v_dual_mov_b32 v17, s5
	s_mov_b32 s6, exec_lo
	s_clause 0x1
	global_load_b64 v[18:19], v14, s[2:3] offset:32 scope:SCOPE_SYS
	global_load_b64 v[2:3], v14, s[2:3] offset:40
	s_wait_loadcnt 0x0
	v_dual_mov_b32 v16, s4 :: v_dual_bitop2_b32 v3, s5, v3 bitop3:0x40
	v_and_b32_e32 v2, s4, v2
	s_delay_alu instid0(VALU_DEP_1) | instskip(NEXT) | instid1(VALU_DEP_1)
	v_mul_u64_e32 v[2:3], 24, v[2:3]
	v_add_nc_u64_e32 v[6:7], v[8:9], v[2:3]
	global_store_b64 v[6:7], v[18:19], off
	global_wb scope:SCOPE_SYS
	s_wait_storecnt 0x0
	s_wait_xcnt 0x0
	global_atomic_cmpswap_b64 v[4:5], v14, v[16:19], s[2:3] offset:32 th:TH_ATOMIC_RETURN scope:SCOPE_SYS
	s_wait_loadcnt 0x0
	v_cmpx_ne_u64_e64 v[4:5], v[18:19]
	s_cbranch_execz .LBB6_145
; %bb.143:
	s_mov_b32 s7, 0
.LBB6_144:                              ; =>This Inner Loop Header: Depth=1
	v_dual_mov_b32 v2, s4 :: v_dual_mov_b32 v3, s5
	s_sleep 1
	global_store_b64 v[6:7], v[4:5], off
	global_wb scope:SCOPE_SYS
	s_wait_storecnt 0x0
	s_wait_xcnt 0x0
	global_atomic_cmpswap_b64 v[2:3], v14, v[2:5], s[2:3] offset:32 th:TH_ATOMIC_RETURN scope:SCOPE_SYS
	s_wait_loadcnt 0x0
	v_cmp_eq_u64_e32 vcc_lo, v[2:3], v[4:5]
	v_mov_b64_e32 v[4:5], v[2:3]
	s_or_b32 s7, vcc_lo, s7
	s_delay_alu instid0(SALU_CYCLE_1)
	s_and_not1_b32 exec_lo, exec_lo, s7
	s_cbranch_execnz .LBB6_144
.LBB6_145:
	s_or_b32 exec_lo, exec_lo, s6
	v_mov_b32_e32 v5, 0
	s_mov_b32 s7, exec_lo
	s_mov_b32 s6, exec_lo
	v_mbcnt_lo_u32_b32 v4, s7, 0
	global_load_b64 v[2:3], v5, s[2:3] offset:16
	s_wait_xcnt 0x0
	v_cmpx_eq_u32_e32 0, v4
	s_cbranch_execz .LBB6_147
; %bb.146:
	s_bcnt1_i32_b32 s7, s7
	s_delay_alu instid0(SALU_CYCLE_1)
	v_mov_b32_e32 v4, s7
	global_wb scope:SCOPE_SYS
	s_wait_loadcnt 0x0
	s_wait_storecnt 0x0
	global_atomic_add_u64 v[2:3], v[4:5], off offset:8 scope:SCOPE_SYS
.LBB6_147:
	s_wait_xcnt 0x0
	s_or_b32 exec_lo, exec_lo, s6
	s_wait_loadcnt 0x0
	global_load_b64 v[4:5], v[2:3], off offset:16
	s_wait_loadcnt 0x0
	v_cmp_eq_u64_e32 vcc_lo, 0, v[4:5]
	s_cbranch_vccnz .LBB6_149
; %bb.148:
	global_load_b32 v2, v[2:3], off offset:24
	s_wait_xcnt 0x0
	v_mov_b32_e32 v3, 0
	s_wait_loadcnt 0x0
	v_readfirstlane_b32 s6, v2
	global_wb scope:SCOPE_SYS
	s_wait_storecnt 0x0
	global_store_b64 v[4:5], v[2:3], off scope:SCOPE_SYS
	s_and_b32 m0, s6, 0xffffff
	s_sendmsg sendmsg(MSG_INTERRUPT)
.LBB6_149:
	s_wait_xcnt 0x0
	s_or_b32 exec_lo, exec_lo, s1
	v_add_nc_u64_e32 v[2:3], v[10:11], v[0:1]
	s_branch .LBB6_153
.LBB6_150:                              ;   in Loop: Header=BB6_153 Depth=1
	s_wait_xcnt 0x0
	s_or_b32 exec_lo, exec_lo, s1
	s_delay_alu instid0(VALU_DEP_1)
	v_readfirstlane_b32 s1, v1
	s_cmp_eq_u32 s1, 0
	s_cbranch_scc1 .LBB6_152
; %bb.151:                              ;   in Loop: Header=BB6_153 Depth=1
	s_sleep 1
	s_cbranch_execnz .LBB6_153
	s_branch .LBB6_155
.LBB6_152:
	s_branch .LBB6_155
.LBB6_153:                              ; =>This Inner Loop Header: Depth=1
	v_mov_b32_e32 v1, 1
	s_and_saveexec_b32 s1, s0
	s_cbranch_execz .LBB6_150
; %bb.154:                              ;   in Loop: Header=BB6_153 Depth=1
	global_load_b32 v1, v[12:13], off offset:20 scope:SCOPE_SYS
	s_wait_loadcnt 0x0
	global_inv scope:SCOPE_SYS
	v_and_b32_e32 v1, 1, v1
	s_branch .LBB6_150
.LBB6_155:
	global_load_b64 v[2:3], v[2:3], off
	s_wait_xcnt 0x0
	s_and_saveexec_b32 s6, s0
	s_cbranch_execz .LBB6_159
; %bb.156:
	v_mov_b32_e32 v1, 0
	s_clause 0x2
	global_load_b64 v[4:5], v1, s[2:3] offset:40
	global_load_b64 v[12:13], v1, s[2:3] offset:24 scope:SCOPE_SYS
	global_load_b64 v[6:7], v1, s[2:3]
	s_wait_loadcnt 0x2
	v_readfirstlane_b32 s8, v4
	v_readfirstlane_b32 s9, v5
	s_add_nc_u64 s[0:1], s[8:9], 1
	s_delay_alu instid0(SALU_CYCLE_1) | instskip(NEXT) | instid1(SALU_CYCLE_1)
	s_add_nc_u64 s[4:5], s[0:1], s[4:5]
	s_cmp_eq_u64 s[4:5], 0
	s_cselect_b32 s1, s1, s5
	s_cselect_b32 s0, s0, s4
	v_mov_b32_e32 v11, s1
	s_and_b64 s[4:5], s[0:1], s[8:9]
	v_mov_b32_e32 v10, s0
	s_mul_u64 s[4:5], s[4:5], 24
	s_wait_loadcnt 0x0
	v_add_nc_u64_e32 v[8:9], s[4:5], v[6:7]
	global_store_b64 v[8:9], v[12:13], off
	global_wb scope:SCOPE_SYS
	s_wait_storecnt 0x0
	s_wait_xcnt 0x0
	global_atomic_cmpswap_b64 v[6:7], v1, v[10:13], s[2:3] offset:24 th:TH_ATOMIC_RETURN scope:SCOPE_SYS
	s_wait_loadcnt 0x0
	v_cmp_ne_u64_e32 vcc_lo, v[6:7], v[12:13]
	s_and_b32 exec_lo, exec_lo, vcc_lo
	s_cbranch_execz .LBB6_159
; %bb.157:
	s_mov_b32 s4, 0
.LBB6_158:                              ; =>This Inner Loop Header: Depth=1
	v_dual_mov_b32 v4, s0 :: v_dual_mov_b32 v5, s1
	s_sleep 1
	global_store_b64 v[8:9], v[6:7], off
	global_wb scope:SCOPE_SYS
	s_wait_storecnt 0x0
	s_wait_xcnt 0x0
	global_atomic_cmpswap_b64 v[4:5], v1, v[4:7], s[2:3] offset:24 th:TH_ATOMIC_RETURN scope:SCOPE_SYS
	s_wait_loadcnt 0x0
	v_cmp_eq_u64_e32 vcc_lo, v[4:5], v[6:7]
	v_mov_b64_e32 v[6:7], v[4:5]
	s_or_b32 s4, vcc_lo, s4
	s_delay_alu instid0(SALU_CYCLE_1)
	s_and_not1_b32 exec_lo, exec_lo, s4
	s_cbranch_execnz .LBB6_158
.LBB6_159:
	s_or_b32 exec_lo, exec_lo, s6
	v_readfirstlane_b32 s0, v29
	v_mov_b64_e32 v[4:5], 0
	s_delay_alu instid0(VALU_DEP_2)
	v_cmp_eq_u32_e64 s0, s0, v29
	s_and_saveexec_b32 s1, s0
	s_cbranch_execz .LBB6_165
; %bb.160:
	v_mov_b32_e32 v1, 0
	s_mov_b32 s4, exec_lo
	global_load_b64 v[6:7], v1, s[2:3] offset:24 scope:SCOPE_SYS
	s_wait_loadcnt 0x0
	global_inv scope:SCOPE_SYS
	s_clause 0x1
	global_load_b64 v[4:5], v1, s[2:3] offset:40
	global_load_b64 v[8:9], v1, s[2:3]
	s_wait_loadcnt 0x1
	v_and_b32_e32 v4, v4, v6
	v_and_b32_e32 v5, v5, v7
	s_delay_alu instid0(VALU_DEP_1) | instskip(SKIP_1) | instid1(VALU_DEP_1)
	v_mul_u64_e32 v[4:5], 24, v[4:5]
	s_wait_loadcnt 0x0
	v_add_nc_u64_e32 v[4:5], v[8:9], v[4:5]
	global_load_b64 v[4:5], v[4:5], off scope:SCOPE_SYS
	s_wait_xcnt 0x0
	s_wait_loadcnt 0x0
	global_atomic_cmpswap_b64 v[4:5], v1, v[4:7], s[2:3] offset:24 th:TH_ATOMIC_RETURN scope:SCOPE_SYS
	s_wait_loadcnt 0x0
	global_inv scope:SCOPE_SYS
	s_wait_xcnt 0x0
	v_cmpx_ne_u64_e64 v[4:5], v[6:7]
	s_cbranch_execz .LBB6_164
; %bb.161:
	s_mov_b32 s5, 0
.LBB6_162:                              ; =>This Inner Loop Header: Depth=1
	s_sleep 1
	s_clause 0x1
	global_load_b64 v[8:9], v1, s[2:3] offset:40
	global_load_b64 v[10:11], v1, s[2:3]
	v_mov_b64_e32 v[6:7], v[4:5]
	s_wait_loadcnt 0x1
	s_delay_alu instid0(VALU_DEP_1) | instskip(NEXT) | instid1(VALU_DEP_2)
	v_and_b32_e32 v4, v8, v6
	v_and_b32_e32 v8, v9, v7
	s_wait_loadcnt 0x0
	s_delay_alu instid0(VALU_DEP_2) | instskip(NEXT) | instid1(VALU_DEP_1)
	v_mad_nc_u64_u32 v[4:5], v4, 24, v[10:11]
	v_mad_u32 v5, v8, 24, v5
	global_load_b64 v[4:5], v[4:5], off scope:SCOPE_SYS
	s_wait_xcnt 0x0
	s_wait_loadcnt 0x0
	global_atomic_cmpswap_b64 v[4:5], v1, v[4:7], s[2:3] offset:24 th:TH_ATOMIC_RETURN scope:SCOPE_SYS
	s_wait_loadcnt 0x0
	global_inv scope:SCOPE_SYS
	v_cmp_eq_u64_e32 vcc_lo, v[4:5], v[6:7]
	s_or_b32 s5, vcc_lo, s5
	s_wait_xcnt 0x0
	s_and_not1_b32 exec_lo, exec_lo, s5
	s_cbranch_execnz .LBB6_162
; %bb.163:
	s_or_b32 exec_lo, exec_lo, s5
.LBB6_164:
	s_delay_alu instid0(SALU_CYCLE_1)
	s_or_b32 exec_lo, exec_lo, s4
.LBB6_165:
	s_delay_alu instid0(SALU_CYCLE_1)
	s_or_b32 exec_lo, exec_lo, s1
	v_readfirstlane_b32 s4, v4
	v_mov_b32_e32 v1, 0
	v_readfirstlane_b32 s5, v5
	s_mov_b32 s1, exec_lo
	s_clause 0x1
	global_load_b64 v[10:11], v1, s[2:3] offset:40
	global_load_b128 v[6:9], v1, s[2:3]
	s_wait_loadcnt 0x1
	v_and_b32_e32 v4, s4, v10
	v_and_b32_e32 v5, s5, v11
	s_delay_alu instid0(VALU_DEP_1) | instskip(SKIP_1) | instid1(VALU_DEP_1)
	v_mul_u64_e32 v[10:11], 24, v[4:5]
	s_wait_loadcnt 0x0
	v_add_nc_u64_e32 v[10:11], v[6:7], v[10:11]
	s_wait_xcnt 0x0
	s_and_saveexec_b32 s6, s0
	s_cbranch_execz .LBB6_167
; %bb.166:
	v_mov_b64_e32 v[14:15], 0x100000002
	v_dual_mov_b32 v12, s1 :: v_dual_mov_b32 v13, v1
	global_store_b128 v[10:11], v[12:15], off offset:8
.LBB6_167:
	s_wait_xcnt 0x0
	s_or_b32 exec_lo, exec_lo, s6
	v_lshlrev_b64_e32 v[4:5], 12, v[4:5]
	s_mov_b32 s8, 0
	v_and_or_b32 v2, 0xffffff1f, v2, 32
	s_mov_b32 s10, s8
	s_mov_b32 s11, s8
	;; [unrolled: 1-line block ×3, first 2 shown]
	v_mov_b64_e32 v[14:15], s[10:11]
	v_add_nc_u64_e32 v[8:9], v[8:9], v[4:5]
	v_mov_b64_e32 v[12:13], s[8:9]
	v_dual_mov_b32 v4, s15 :: v_dual_mov_b32 v5, v1
	s_delay_alu instid0(VALU_DEP_3) | instskip(NEXT) | instid1(VALU_DEP_4)
	v_readfirstlane_b32 s6, v8
	v_readfirstlane_b32 s7, v9
	s_clause 0x3
	global_store_b128 v0, v[2:5], s[6:7]
	global_store_b128 v0, v[12:15], s[6:7] offset:16
	global_store_b128 v0, v[12:15], s[6:7] offset:32
	;; [unrolled: 1-line block ×3, first 2 shown]
	s_wait_xcnt 0x0
	s_and_saveexec_b32 s1, s0
	s_cbranch_execz .LBB6_175
; %bb.168:
	v_dual_mov_b32 v12, 0 :: v_dual_mov_b32 v15, s5
	s_mov_b32 s6, exec_lo
	s_clause 0x1
	global_load_b64 v[16:17], v12, s[2:3] offset:32 scope:SCOPE_SYS
	global_load_b64 v[2:3], v12, s[2:3] offset:40
	s_wait_loadcnt 0x0
	v_dual_mov_b32 v14, s4 :: v_dual_bitop2_b32 v3, s5, v3 bitop3:0x40
	v_and_b32_e32 v2, s4, v2
	s_delay_alu instid0(VALU_DEP_1) | instskip(NEXT) | instid1(VALU_DEP_1)
	v_mul_u64_e32 v[2:3], 24, v[2:3]
	v_add_nc_u64_e32 v[6:7], v[6:7], v[2:3]
	global_store_b64 v[6:7], v[16:17], off
	global_wb scope:SCOPE_SYS
	s_wait_storecnt 0x0
	s_wait_xcnt 0x0
	global_atomic_cmpswap_b64 v[4:5], v12, v[14:17], s[2:3] offset:32 th:TH_ATOMIC_RETURN scope:SCOPE_SYS
	s_wait_loadcnt 0x0
	v_cmpx_ne_u64_e64 v[4:5], v[16:17]
	s_cbranch_execz .LBB6_171
; %bb.169:
	s_mov_b32 s7, 0
.LBB6_170:                              ; =>This Inner Loop Header: Depth=1
	v_dual_mov_b32 v2, s4 :: v_dual_mov_b32 v3, s5
	s_sleep 1
	global_store_b64 v[6:7], v[4:5], off
	global_wb scope:SCOPE_SYS
	s_wait_storecnt 0x0
	s_wait_xcnt 0x0
	global_atomic_cmpswap_b64 v[2:3], v12, v[2:5], s[2:3] offset:32 th:TH_ATOMIC_RETURN scope:SCOPE_SYS
	s_wait_loadcnt 0x0
	v_cmp_eq_u64_e32 vcc_lo, v[2:3], v[4:5]
	v_mov_b64_e32 v[4:5], v[2:3]
	s_or_b32 s7, vcc_lo, s7
	s_delay_alu instid0(SALU_CYCLE_1)
	s_and_not1_b32 exec_lo, exec_lo, s7
	s_cbranch_execnz .LBB6_170
.LBB6_171:
	s_or_b32 exec_lo, exec_lo, s6
	v_mov_b32_e32 v5, 0
	s_mov_b32 s7, exec_lo
	s_mov_b32 s6, exec_lo
	v_mbcnt_lo_u32_b32 v4, s7, 0
	global_load_b64 v[2:3], v5, s[2:3] offset:16
	s_wait_xcnt 0x0
	v_cmpx_eq_u32_e32 0, v4
	s_cbranch_execz .LBB6_173
; %bb.172:
	s_bcnt1_i32_b32 s7, s7
	s_delay_alu instid0(SALU_CYCLE_1)
	v_mov_b32_e32 v4, s7
	global_wb scope:SCOPE_SYS
	s_wait_loadcnt 0x0
	s_wait_storecnt 0x0
	global_atomic_add_u64 v[2:3], v[4:5], off offset:8 scope:SCOPE_SYS
.LBB6_173:
	s_wait_xcnt 0x0
	s_or_b32 exec_lo, exec_lo, s6
	s_wait_loadcnt 0x0
	global_load_b64 v[4:5], v[2:3], off offset:16
	s_wait_loadcnt 0x0
	v_cmp_eq_u64_e32 vcc_lo, 0, v[4:5]
	s_cbranch_vccnz .LBB6_175
; %bb.174:
	global_load_b32 v2, v[2:3], off offset:24
	s_wait_xcnt 0x0
	v_mov_b32_e32 v3, 0
	s_wait_loadcnt 0x0
	v_readfirstlane_b32 s6, v2
	global_wb scope:SCOPE_SYS
	s_wait_storecnt 0x0
	global_store_b64 v[4:5], v[2:3], off scope:SCOPE_SYS
	s_and_b32 m0, s6, 0xffffff
	s_sendmsg sendmsg(MSG_INTERRUPT)
.LBB6_175:
	s_wait_xcnt 0x0
	s_or_b32 exec_lo, exec_lo, s1
	v_add_nc_u64_e32 v[2:3], v[8:9], v[0:1]
	s_branch .LBB6_179
.LBB6_176:                              ;   in Loop: Header=BB6_179 Depth=1
	s_wait_xcnt 0x0
	s_or_b32 exec_lo, exec_lo, s1
	s_delay_alu instid0(VALU_DEP_1)
	v_readfirstlane_b32 s1, v1
	s_cmp_eq_u32 s1, 0
	s_cbranch_scc1 .LBB6_178
; %bb.177:                              ;   in Loop: Header=BB6_179 Depth=1
	s_sleep 1
	s_cbranch_execnz .LBB6_179
	s_branch .LBB6_181
.LBB6_178:
	s_branch .LBB6_181
.LBB6_179:                              ; =>This Inner Loop Header: Depth=1
	v_mov_b32_e32 v1, 1
	s_and_saveexec_b32 s1, s0
	s_cbranch_execz .LBB6_176
; %bb.180:                              ;   in Loop: Header=BB6_179 Depth=1
	global_load_b32 v1, v[10:11], off offset:20 scope:SCOPE_SYS
	s_wait_loadcnt 0x0
	global_inv scope:SCOPE_SYS
	v_and_b32_e32 v1, 1, v1
	s_branch .LBB6_176
.LBB6_181:
	global_load_b64 v[2:3], v[2:3], off
	s_wait_xcnt 0x0
	s_and_saveexec_b32 s6, s0
	s_cbranch_execz .LBB6_185
; %bb.182:
	v_mov_b32_e32 v1, 0
	s_clause 0x2
	global_load_b64 v[4:5], v1, s[2:3] offset:40
	global_load_b64 v[12:13], v1, s[2:3] offset:24 scope:SCOPE_SYS
	global_load_b64 v[6:7], v1, s[2:3]
	s_wait_loadcnt 0x2
	v_readfirstlane_b32 s8, v4
	v_readfirstlane_b32 s9, v5
	s_add_nc_u64 s[0:1], s[8:9], 1
	s_delay_alu instid0(SALU_CYCLE_1) | instskip(NEXT) | instid1(SALU_CYCLE_1)
	s_add_nc_u64 s[4:5], s[0:1], s[4:5]
	s_cmp_eq_u64 s[4:5], 0
	s_cselect_b32 s1, s1, s5
	s_cselect_b32 s0, s0, s4
	v_mov_b32_e32 v11, s1
	s_and_b64 s[4:5], s[0:1], s[8:9]
	v_mov_b32_e32 v10, s0
	s_mul_u64 s[4:5], s[4:5], 24
	s_wait_loadcnt 0x0
	v_add_nc_u64_e32 v[8:9], s[4:5], v[6:7]
	global_store_b64 v[8:9], v[12:13], off
	global_wb scope:SCOPE_SYS
	s_wait_storecnt 0x0
	s_wait_xcnt 0x0
	global_atomic_cmpswap_b64 v[6:7], v1, v[10:13], s[2:3] offset:24 th:TH_ATOMIC_RETURN scope:SCOPE_SYS
	s_wait_loadcnt 0x0
	v_cmp_ne_u64_e32 vcc_lo, v[6:7], v[12:13]
	s_and_b32 exec_lo, exec_lo, vcc_lo
	s_cbranch_execz .LBB6_185
; %bb.183:
	s_mov_b32 s4, 0
.LBB6_184:                              ; =>This Inner Loop Header: Depth=1
	v_dual_mov_b32 v4, s0 :: v_dual_mov_b32 v5, s1
	s_sleep 1
	global_store_b64 v[8:9], v[6:7], off
	global_wb scope:SCOPE_SYS
	s_wait_storecnt 0x0
	s_wait_xcnt 0x0
	global_atomic_cmpswap_b64 v[4:5], v1, v[4:7], s[2:3] offset:24 th:TH_ATOMIC_RETURN scope:SCOPE_SYS
	s_wait_loadcnt 0x0
	v_cmp_eq_u64_e32 vcc_lo, v[4:5], v[6:7]
	v_mov_b64_e32 v[6:7], v[4:5]
	s_or_b32 s4, vcc_lo, s4
	s_delay_alu instid0(SALU_CYCLE_1)
	s_and_not1_b32 exec_lo, exec_lo, s4
	s_cbranch_execnz .LBB6_184
.LBB6_185:
	s_or_b32 exec_lo, exec_lo, s6
	v_readfirstlane_b32 s0, v29
	v_mov_b64_e32 v[10:11], 0
	s_delay_alu instid0(VALU_DEP_2)
	v_cmp_eq_u32_e64 s0, s0, v29
	s_and_saveexec_b32 s1, s0
	s_cbranch_execz .LBB6_191
; %bb.186:
	v_mov_b32_e32 v1, 0
	s_mov_b32 s4, exec_lo
	global_load_b64 v[6:7], v1, s[2:3] offset:24 scope:SCOPE_SYS
	s_wait_loadcnt 0x0
	global_inv scope:SCOPE_SYS
	s_clause 0x1
	global_load_b64 v[4:5], v1, s[2:3] offset:40
	global_load_b64 v[8:9], v1, s[2:3]
	s_wait_loadcnt 0x1
	v_and_b32_e32 v4, v4, v6
	v_and_b32_e32 v5, v5, v7
	s_delay_alu instid0(VALU_DEP_1) | instskip(SKIP_1) | instid1(VALU_DEP_1)
	v_mul_u64_e32 v[4:5], 24, v[4:5]
	s_wait_loadcnt 0x0
	v_add_nc_u64_e32 v[4:5], v[8:9], v[4:5]
	global_load_b64 v[4:5], v[4:5], off scope:SCOPE_SYS
	s_wait_xcnt 0x0
	s_wait_loadcnt 0x0
	global_atomic_cmpswap_b64 v[10:11], v1, v[4:7], s[2:3] offset:24 th:TH_ATOMIC_RETURN scope:SCOPE_SYS
	s_wait_loadcnt 0x0
	global_inv scope:SCOPE_SYS
	s_wait_xcnt 0x0
	v_cmpx_ne_u64_e64 v[10:11], v[6:7]
	s_cbranch_execz .LBB6_190
; %bb.187:
	s_mov_b32 s5, 0
.LBB6_188:                              ; =>This Inner Loop Header: Depth=1
	s_sleep 1
	s_clause 0x1
	global_load_b64 v[4:5], v1, s[2:3] offset:40
	global_load_b64 v[8:9], v1, s[2:3]
	v_mov_b64_e32 v[6:7], v[10:11]
	s_wait_loadcnt 0x1
	s_delay_alu instid0(VALU_DEP_1) | instskip(SKIP_1) | instid1(VALU_DEP_1)
	v_and_b32_e32 v4, v4, v6
	s_wait_loadcnt 0x0
	v_mad_nc_u64_u32 v[8:9], v4, 24, v[8:9]
	s_delay_alu instid0(VALU_DEP_3) | instskip(NEXT) | instid1(VALU_DEP_1)
	v_and_b32_e32 v4, v5, v7
	v_mad_u32 v9, v4, 24, v9
	global_load_b64 v[4:5], v[8:9], off scope:SCOPE_SYS
	s_wait_xcnt 0x0
	s_wait_loadcnt 0x0
	global_atomic_cmpswap_b64 v[10:11], v1, v[4:7], s[2:3] offset:24 th:TH_ATOMIC_RETURN scope:SCOPE_SYS
	s_wait_loadcnt 0x0
	global_inv scope:SCOPE_SYS
	v_cmp_eq_u64_e32 vcc_lo, v[10:11], v[6:7]
	s_or_b32 s5, vcc_lo, s5
	s_wait_xcnt 0x0
	s_and_not1_b32 exec_lo, exec_lo, s5
	s_cbranch_execnz .LBB6_188
; %bb.189:
	s_or_b32 exec_lo, exec_lo, s5
.LBB6_190:
	s_delay_alu instid0(SALU_CYCLE_1)
	s_or_b32 exec_lo, exec_lo, s4
.LBB6_191:
	s_delay_alu instid0(SALU_CYCLE_1)
	s_or_b32 exec_lo, exec_lo, s1
	v_readfirstlane_b32 s4, v10
	v_mov_b32_e32 v5, 0
	v_readfirstlane_b32 s5, v11
	s_mov_b32 s1, exec_lo
	s_clause 0x1
	global_load_b64 v[12:13], v5, s[2:3] offset:40
	global_load_b128 v[6:9], v5, s[2:3]
	s_wait_loadcnt 0x1
	v_and_b32_e32 v12, s4, v12
	v_and_b32_e32 v13, s5, v13
	s_delay_alu instid0(VALU_DEP_1) | instskip(SKIP_1) | instid1(VALU_DEP_1)
	v_mul_u64_e32 v[10:11], 24, v[12:13]
	s_wait_loadcnt 0x0
	v_add_nc_u64_e32 v[10:11], v[6:7], v[10:11]
	s_wait_xcnt 0x0
	s_and_saveexec_b32 s6, s0
	s_cbranch_execz .LBB6_193
; %bb.192:
	v_mov_b32_e32 v4, s1
	v_mov_b64_e32 v[16:17], 0x100000002
	s_delay_alu instid0(VALU_DEP_2)
	v_mov_b64_e32 v[14:15], v[4:5]
	global_store_b128 v[10:11], v[14:17], off offset:8
.LBB6_193:
	s_wait_xcnt 0x0
	s_or_b32 exec_lo, exec_lo, s6
	v_lshlrev_b64_e32 v[12:13], 12, v[12:13]
	s_mov_b32 s8, 0
	v_and_or_b32 v2, 0xffffff1d, v2, 34
	s_mov_b32 s10, s8
	s_mov_b32 s11, s8
	;; [unrolled: 1-line block ×3, first 2 shown]
	v_mov_b32_e32 v4, s14
	v_add_nc_u64_e32 v[8:9], v[8:9], v[12:13]
	v_mov_b64_e32 v[14:15], s[10:11]
	v_mov_b64_e32 v[12:13], s[8:9]
	s_delay_alu instid0(VALU_DEP_3) | instskip(NEXT) | instid1(VALU_DEP_4)
	v_readfirstlane_b32 s6, v8
	v_readfirstlane_b32 s7, v9
	s_clause 0x3
	global_store_b128 v0, v[2:5], s[6:7]
	global_store_b128 v0, v[12:15], s[6:7] offset:16
	global_store_b128 v0, v[12:15], s[6:7] offset:32
	;; [unrolled: 1-line block ×3, first 2 shown]
	s_wait_xcnt 0x0
	s_and_saveexec_b32 s1, s0
	s_cbranch_execz .LBB6_201
; %bb.194:
	v_dual_mov_b32 v8, 0 :: v_dual_mov_b32 v13, s5
	s_mov_b32 s6, exec_lo
	s_clause 0x1
	global_load_b64 v[14:15], v8, s[2:3] offset:32 scope:SCOPE_SYS
	global_load_b64 v[0:1], v8, s[2:3] offset:40
	s_wait_loadcnt 0x0
	v_dual_mov_b32 v12, s4 :: v_dual_bitop2_b32 v1, s5, v1 bitop3:0x40
	v_and_b32_e32 v0, s4, v0
	s_delay_alu instid0(VALU_DEP_1) | instskip(NEXT) | instid1(VALU_DEP_1)
	v_mul_u64_e32 v[0:1], 24, v[0:1]
	v_add_nc_u64_e32 v[4:5], v[6:7], v[0:1]
	global_store_b64 v[4:5], v[14:15], off
	global_wb scope:SCOPE_SYS
	s_wait_storecnt 0x0
	s_wait_xcnt 0x0
	global_atomic_cmpswap_b64 v[2:3], v8, v[12:15], s[2:3] offset:32 th:TH_ATOMIC_RETURN scope:SCOPE_SYS
	s_wait_loadcnt 0x0
	v_cmpx_ne_u64_e64 v[2:3], v[14:15]
	s_cbranch_execz .LBB6_197
; %bb.195:
	s_mov_b32 s7, 0
.LBB6_196:                              ; =>This Inner Loop Header: Depth=1
	v_dual_mov_b32 v0, s4 :: v_dual_mov_b32 v1, s5
	s_sleep 1
	global_store_b64 v[4:5], v[2:3], off
	global_wb scope:SCOPE_SYS
	s_wait_storecnt 0x0
	s_wait_xcnt 0x0
	global_atomic_cmpswap_b64 v[0:1], v8, v[0:3], s[2:3] offset:32 th:TH_ATOMIC_RETURN scope:SCOPE_SYS
	s_wait_loadcnt 0x0
	v_cmp_eq_u64_e32 vcc_lo, v[0:1], v[2:3]
	v_mov_b64_e32 v[2:3], v[0:1]
	s_or_b32 s7, vcc_lo, s7
	s_delay_alu instid0(SALU_CYCLE_1)
	s_and_not1_b32 exec_lo, exec_lo, s7
	s_cbranch_execnz .LBB6_196
.LBB6_197:
	s_or_b32 exec_lo, exec_lo, s6
	v_mov_b32_e32 v3, 0
	s_mov_b32 s7, exec_lo
	s_mov_b32 s6, exec_lo
	v_mbcnt_lo_u32_b32 v2, s7, 0
	global_load_b64 v[0:1], v3, s[2:3] offset:16
	s_wait_xcnt 0x0
	v_cmpx_eq_u32_e32 0, v2
	s_cbranch_execz .LBB6_199
; %bb.198:
	s_bcnt1_i32_b32 s7, s7
	s_delay_alu instid0(SALU_CYCLE_1)
	v_mov_b32_e32 v2, s7
	global_wb scope:SCOPE_SYS
	s_wait_loadcnt 0x0
	s_wait_storecnt 0x0
	global_atomic_add_u64 v[0:1], v[2:3], off offset:8 scope:SCOPE_SYS
.LBB6_199:
	s_wait_xcnt 0x0
	s_or_b32 exec_lo, exec_lo, s6
	s_wait_loadcnt 0x0
	global_load_b64 v[2:3], v[0:1], off offset:16
	s_wait_loadcnt 0x0
	v_cmp_eq_u64_e32 vcc_lo, 0, v[2:3]
	s_cbranch_vccnz .LBB6_201
; %bb.200:
	global_load_b32 v0, v[0:1], off offset:24
	s_wait_xcnt 0x0
	v_mov_b32_e32 v1, 0
	s_wait_loadcnt 0x0
	v_readfirstlane_b32 s6, v0
	global_wb scope:SCOPE_SYS
	s_wait_storecnt 0x0
	global_store_b64 v[2:3], v[0:1], off scope:SCOPE_SYS
	s_and_b32 m0, s6, 0xffffff
	s_sendmsg sendmsg(MSG_INTERRUPT)
.LBB6_201:
	s_wait_xcnt 0x0
	s_or_b32 exec_lo, exec_lo, s1
	s_branch .LBB6_205
.LBB6_202:                              ;   in Loop: Header=BB6_205 Depth=1
	s_wait_xcnt 0x0
	s_or_b32 exec_lo, exec_lo, s1
	s_delay_alu instid0(VALU_DEP_1)
	v_readfirstlane_b32 s1, v0
	s_cmp_eq_u32 s1, 0
	s_cbranch_scc1 .LBB6_204
; %bb.203:                              ;   in Loop: Header=BB6_205 Depth=1
	s_sleep 1
	s_cbranch_execnz .LBB6_205
	s_branch .LBB6_207
.LBB6_204:
	s_branch .LBB6_207
.LBB6_205:                              ; =>This Inner Loop Header: Depth=1
	v_mov_b32_e32 v0, 1
	s_and_saveexec_b32 s1, s0
	s_cbranch_execz .LBB6_202
; %bb.206:                              ;   in Loop: Header=BB6_205 Depth=1
	global_load_b32 v0, v[10:11], off offset:20 scope:SCOPE_SYS
	s_wait_loadcnt 0x0
	global_inv scope:SCOPE_SYS
	v_and_b32_e32 v0, 1, v0
	s_branch .LBB6_202
.LBB6_207:
	s_and_saveexec_b32 s1, s0
	s_cbranch_execz .LBB6_211
; %bb.208:
	v_mov_b32_e32 v6, 0
	s_clause 0x2
	global_load_b64 v[0:1], v6, s[2:3] offset:40
	global_load_b64 v[10:11], v6, s[2:3] offset:24 scope:SCOPE_SYS
	global_load_b64 v[2:3], v6, s[2:3]
	s_wait_loadcnt 0x2
	v_readfirstlane_b32 s6, v0
	v_readfirstlane_b32 s7, v1
	s_add_nc_u64 s[0:1], s[6:7], 1
	s_delay_alu instid0(SALU_CYCLE_1) | instskip(NEXT) | instid1(SALU_CYCLE_1)
	s_add_nc_u64 s[4:5], s[0:1], s[4:5]
	s_cmp_eq_u64 s[4:5], 0
	s_cselect_b32 s1, s1, s5
	s_cselect_b32 s0, s0, s4
	v_mov_b32_e32 v9, s1
	s_and_b64 s[4:5], s[0:1], s[6:7]
	v_mov_b32_e32 v8, s0
	s_mul_u64 s[4:5], s[4:5], 24
	s_wait_loadcnt 0x0
	v_add_nc_u64_e32 v[4:5], s[4:5], v[2:3]
	global_store_b64 v[4:5], v[10:11], off
	global_wb scope:SCOPE_SYS
	s_wait_storecnt 0x0
	s_wait_xcnt 0x0
	global_atomic_cmpswap_b64 v[2:3], v6, v[8:11], s[2:3] offset:24 th:TH_ATOMIC_RETURN scope:SCOPE_SYS
	s_wait_loadcnt 0x0
	v_cmp_ne_u64_e32 vcc_lo, v[2:3], v[10:11]
	s_and_b32 exec_lo, exec_lo, vcc_lo
	s_cbranch_execz .LBB6_211
; %bb.209:
	s_mov_b32 s4, 0
.LBB6_210:                              ; =>This Inner Loop Header: Depth=1
	v_dual_mov_b32 v0, s0 :: v_dual_mov_b32 v1, s1
	s_sleep 1
	global_store_b64 v[4:5], v[2:3], off
	global_wb scope:SCOPE_SYS
	s_wait_storecnt 0x0
	s_wait_xcnt 0x0
	global_atomic_cmpswap_b64 v[0:1], v6, v[0:3], s[2:3] offset:24 th:TH_ATOMIC_RETURN scope:SCOPE_SYS
	s_wait_loadcnt 0x0
	v_cmp_eq_u64_e32 vcc_lo, v[0:1], v[2:3]
	v_mov_b64_e32 v[2:3], v[0:1]
	s_or_b32 s4, vcc_lo, s4
	s_delay_alu instid0(SALU_CYCLE_1)
	s_and_not1_b32 exec_lo, exec_lo, s4
	s_cbranch_execnz .LBB6_210
.LBB6_211:
	s_endpgm
	.section	.rodata,"a",@progbits
	.p2align	6, 0x0
	.amdhsa_kernel _Z16printStatsKernelPKiS0_S0_
		.amdhsa_group_segment_fixed_size 0
		.amdhsa_private_segment_fixed_size 0
		.amdhsa_kernarg_size 280
		.amdhsa_user_sgpr_count 2
		.amdhsa_user_sgpr_dispatch_ptr 0
		.amdhsa_user_sgpr_queue_ptr 0
		.amdhsa_user_sgpr_kernarg_segment_ptr 1
		.amdhsa_user_sgpr_dispatch_id 0
		.amdhsa_user_sgpr_kernarg_preload_length 0
		.amdhsa_user_sgpr_kernarg_preload_offset 0
		.amdhsa_user_sgpr_private_segment_size 0
		.amdhsa_wavefront_size32 1
		.amdhsa_uses_dynamic_stack 0
		.amdhsa_enable_private_segment 0
		.amdhsa_system_sgpr_workgroup_id_x 1
		.amdhsa_system_sgpr_workgroup_id_y 0
		.amdhsa_system_sgpr_workgroup_id_z 0
		.amdhsa_system_sgpr_workgroup_info 0
		.amdhsa_system_vgpr_workitem_id 0
		.amdhsa_next_free_vgpr 34
		.amdhsa_next_free_sgpr 22
		.amdhsa_named_barrier_count 0
		.amdhsa_reserve_vcc 1
		.amdhsa_float_round_mode_32 0
		.amdhsa_float_round_mode_16_64 0
		.amdhsa_float_denorm_mode_32 3
		.amdhsa_float_denorm_mode_16_64 3
		.amdhsa_fp16_overflow 0
		.amdhsa_memory_ordered 1
		.amdhsa_forward_progress 1
		.amdhsa_inst_pref_size 76
		.amdhsa_round_robin_scheduling 0
		.amdhsa_exception_fp_ieee_invalid_op 0
		.amdhsa_exception_fp_denorm_src 0
		.amdhsa_exception_fp_ieee_div_zero 0
		.amdhsa_exception_fp_ieee_overflow 0
		.amdhsa_exception_fp_ieee_underflow 0
		.amdhsa_exception_fp_ieee_inexact 0
		.amdhsa_exception_int_div_zero 0
	.end_amdhsa_kernel
	.text
.Lfunc_end6:
	.size	_Z16printStatsKernelPKiS0_S0_, .Lfunc_end6-_Z16printStatsKernelPKiS0_S0_
                                        ; -- End function
	.set _Z16printStatsKernelPKiS0_S0_.num_vgpr, 34
	.set _Z16printStatsKernelPKiS0_S0_.num_agpr, 0
	.set _Z16printStatsKernelPKiS0_S0_.numbered_sgpr, 22
	.set _Z16printStatsKernelPKiS0_S0_.num_named_barrier, 0
	.set _Z16printStatsKernelPKiS0_S0_.private_seg_size, 0
	.set _Z16printStatsKernelPKiS0_S0_.uses_vcc, 1
	.set _Z16printStatsKernelPKiS0_S0_.uses_flat_scratch, 0
	.set _Z16printStatsKernelPKiS0_S0_.has_dyn_sized_stack, 0
	.set _Z16printStatsKernelPKiS0_S0_.has_recursion, 0
	.set _Z16printStatsKernelPKiS0_S0_.has_indirect_call, 0
	.section	.AMDGPU.csdata,"",@progbits
; Kernel info:
; codeLenInByte = 9624
; TotalNumSgprs: 24
; NumVgprs: 34
; ScratchSize: 0
; MemoryBound: 0
; FloatMode: 240
; IeeeMode: 1
; LDSByteSize: 0 bytes/workgroup (compile time only)
; SGPRBlocks: 0
; VGPRBlocks: 2
; NumSGPRsForWavesPerEU: 24
; NumVGPRsForWavesPerEU: 34
; NamedBarCnt: 0
; Occupancy: 16
; WaveLimiterHint : 1
; COMPUTE_PGM_RSRC2:SCRATCH_EN: 0
; COMPUTE_PGM_RSRC2:USER_SGPR: 2
; COMPUTE_PGM_RSRC2:TRAP_HANDLER: 0
; COMPUTE_PGM_RSRC2:TGID_X_EN: 1
; COMPUTE_PGM_RSRC2:TGID_Y_EN: 0
; COMPUTE_PGM_RSRC2:TGID_Z_EN: 0
; COMPUTE_PGM_RSRC2:TIDIG_COMP_CNT: 0
	.text
	.protected	_Z17updateDeviceStatsiiPiS_ ; -- Begin function _Z17updateDeviceStatsiiPiS_
	.globl	_Z17updateDeviceStatsiiPiS_
	.p2align	8
	.type	_Z17updateDeviceStatsiiPiS_,@function
_Z17updateDeviceStatsiiPiS_:            ; @_Z17updateDeviceStatsiiPiS_
; %bb.0:
	s_load_b32 s2, s[0:1], 0x24
	s_bfe_u32 s3, ttmp6, 0x4000c
	s_and_b32 s4, ttmp6, 15
	s_add_co_i32 s3, s3, 1
	s_getreg_b32 s5, hwreg(HW_REG_IB_STS2, 6, 4)
	s_mul_i32 s3, ttmp9, s3
	v_sub_nc_u32_e32 v0, 0, v0
	s_add_co_i32 s4, s4, s3
	s_wait_kmcnt 0x0
	s_and_b32 s2, s2, 0xffff
	s_cmp_eq_u32 s5, 0
	s_cselect_b32 s3, ttmp9, s4
	s_delay_alu instid0(SALU_CYCLE_1)
	s_mul_i32 s3, s3, s2
	s_mov_b32 s2, exec_lo
	v_cmpx_eq_u32_e64 s3, v0
	s_cbranch_execz .LBB7_2
; %bb.1:
	s_clause 0x1
	s_load_b64 s[2:3], s[0:1], 0x0
	s_load_b128 s[4:7], s[0:1], 0x8
	s_wait_kmcnt 0x0
	v_dual_mov_b32 v0, 0 :: v_dual_mov_b32 v1, s2
	s_add_co_i32 s0, s2, s3
	s_delay_alu instid0(SALU_CYCLE_1) | instskip(NEXT) | instid1(SALU_CYCLE_1)
	s_add_co_i32 s0, s0, 1
	v_mov_b32_e32 v2, s0
	s_clause 0x1
	global_store_b32 v0, v1, s[4:5]
	global_store_b32 v0, v2, s[6:7]
.LBB7_2:
	s_endpgm
	.section	.rodata,"a",@progbits
	.p2align	6, 0x0
	.amdhsa_kernel _Z17updateDeviceStatsiiPiS_
		.amdhsa_group_segment_fixed_size 0
		.amdhsa_private_segment_fixed_size 0
		.amdhsa_kernarg_size 280
		.amdhsa_user_sgpr_count 2
		.amdhsa_user_sgpr_dispatch_ptr 0
		.amdhsa_user_sgpr_queue_ptr 0
		.amdhsa_user_sgpr_kernarg_segment_ptr 1
		.amdhsa_user_sgpr_dispatch_id 0
		.amdhsa_user_sgpr_kernarg_preload_length 0
		.amdhsa_user_sgpr_kernarg_preload_offset 0
		.amdhsa_user_sgpr_private_segment_size 0
		.amdhsa_wavefront_size32 1
		.amdhsa_uses_dynamic_stack 0
		.amdhsa_enable_private_segment 0
		.amdhsa_system_sgpr_workgroup_id_x 1
		.amdhsa_system_sgpr_workgroup_id_y 0
		.amdhsa_system_sgpr_workgroup_id_z 0
		.amdhsa_system_sgpr_workgroup_info 0
		.amdhsa_system_vgpr_workitem_id 0
		.amdhsa_next_free_vgpr 3
		.amdhsa_next_free_sgpr 8
		.amdhsa_named_barrier_count 0
		.amdhsa_reserve_vcc 0
		.amdhsa_float_round_mode_32 0
		.amdhsa_float_round_mode_16_64 0
		.amdhsa_float_denorm_mode_32 3
		.amdhsa_float_denorm_mode_16_64 3
		.amdhsa_fp16_overflow 0
		.amdhsa_memory_ordered 1
		.amdhsa_forward_progress 1
		.amdhsa_inst_pref_size 2
		.amdhsa_round_robin_scheduling 0
		.amdhsa_exception_fp_ieee_invalid_op 0
		.amdhsa_exception_fp_denorm_src 0
		.amdhsa_exception_fp_ieee_div_zero 0
		.amdhsa_exception_fp_ieee_overflow 0
		.amdhsa_exception_fp_ieee_underflow 0
		.amdhsa_exception_fp_ieee_inexact 0
		.amdhsa_exception_int_div_zero 0
	.end_amdhsa_kernel
	.text
.Lfunc_end7:
	.size	_Z17updateDeviceStatsiiPiS_, .Lfunc_end7-_Z17updateDeviceStatsiiPiS_
                                        ; -- End function
	.set _Z17updateDeviceStatsiiPiS_.num_vgpr, 3
	.set _Z17updateDeviceStatsiiPiS_.num_agpr, 0
	.set _Z17updateDeviceStatsiiPiS_.numbered_sgpr, 8
	.set _Z17updateDeviceStatsiiPiS_.num_named_barrier, 0
	.set _Z17updateDeviceStatsiiPiS_.private_seg_size, 0
	.set _Z17updateDeviceStatsiiPiS_.uses_vcc, 0
	.set _Z17updateDeviceStatsiiPiS_.uses_flat_scratch, 0
	.set _Z17updateDeviceStatsiiPiS_.has_dyn_sized_stack, 0
	.set _Z17updateDeviceStatsiiPiS_.has_recursion, 0
	.set _Z17updateDeviceStatsiiPiS_.has_indirect_call, 0
	.section	.AMDGPU.csdata,"",@progbits
; Kernel info:
; codeLenInByte = 164
; TotalNumSgprs: 8
; NumVgprs: 3
; ScratchSize: 0
; MemoryBound: 0
; FloatMode: 240
; IeeeMode: 1
; LDSByteSize: 0 bytes/workgroup (compile time only)
; SGPRBlocks: 0
; VGPRBlocks: 0
; NumSGPRsForWavesPerEU: 8
; NumVGPRsForWavesPerEU: 3
; NamedBarCnt: 0
; Occupancy: 16
; WaveLimiterHint : 0
; COMPUTE_PGM_RSRC2:SCRATCH_EN: 0
; COMPUTE_PGM_RSRC2:USER_SGPR: 2
; COMPUTE_PGM_RSRC2:TRAP_HANDLER: 0
; COMPUTE_PGM_RSRC2:TGID_X_EN: 1
; COMPUTE_PGM_RSRC2:TGID_Y_EN: 0
; COMPUTE_PGM_RSRC2:TGID_Z_EN: 0
; COMPUTE_PGM_RSRC2:TIDIG_COMP_CNT: 0
	.text
	.p2alignl 7, 3214868480
	.fill 96, 4, 3214868480
	.section	.AMDGPU.gpr_maximums,"",@progbits
	.set amdgpu.max_num_vgpr, 38
	.set amdgpu.max_num_agpr, 0
	.set amdgpu.max_num_sgpr, 32
	.text
	.type	.str,@object                    ; @.str
	.section	.rodata.str1.1,"aMS",@progbits,1
.str:
	.asciz	"-------Original AIG Device-------\n"
	.size	.str, 35

	.type	.str.1,@object                  ; @.str.1
.str.1:
	.asciz	"id\tfanin0\tfanin1\tnumFanouts\n"
	.size	.str.1, 29

	.type	.str.2,@object                  ; @.str.2
.str.2:
	.asciz	"%d\t"
	.size	.str.2, 4

	.type	.str.3,@object                  ; @.str.3
.str.3:
	.asciz	"%s%d\t"
	.size	.str.3, 6

	.type	.str.4,@object                  ; @.str.4
.str.4:
	.asciz	"!"
	.size	.str.4, 2

	.type	.str.5,@object                  ; @.str.5
.str.5:
	.zero	1
	.size	.str.5, 1

	.type	.str.6,@object                  ; @.str.6
.str.6:
	.asciz	"\t"
	.size	.str.6, 2

	.type	.str.7,@object                  ; @.str.7
.str.7:
	.asciz	"%d"
	.size	.str.7, 3

	.type	.str.8,@object                  ; @.str.8
.str.8:
	.asciz	"\n"
	.size	.str.8, 2

	.type	.str.9,@object                  ; @.str.9
.str.9:
	.asciz	"%s%d\n"
	.size	.str.9, 6

	.type	.str.10,@object                 ; @.str.10
.str.10:
	.asciz	"nObjs: %d, nPIs: %d, nPOs:%d, nNodes: %d\n"
	.size	.str.10, 42

	.type	.str.11,@object                 ; @.str.11
.str.11:
	.asciz	"AIG stats: i/o = %d/%d and = %d"
	.size	.str.11, 32

	.type	__hip_cuid_e24d930d096edd2b,@object ; @__hip_cuid_e24d930d096edd2b
	.section	.bss,"aw",@nobits
	.globl	__hip_cuid_e24d930d096edd2b
__hip_cuid_e24d930d096edd2b:
	.byte	0                               ; 0x0
	.size	__hip_cuid_e24d930d096edd2b, 1

	.ident	"AMD clang version 22.0.0git (https://github.com/RadeonOpenCompute/llvm-project roc-7.2.4 26084 f58b06dce1f9c15707c5f808fd002e18c2accf7e)"
	.section	".note.GNU-stack","",@progbits
	.addrsig
	.addrsig_sym __hip_cuid_e24d930d096edd2b
	.amdgpu_metadata
---
amdhsa.kernels:
  - .args:
      - .address_space:  global
        .offset:         0
        .size:           8
        .value_kind:     global_buffer
      - .address_space:  global
        .offset:         8
        .size:           8
        .value_kind:     global_buffer
      - .address_space:  global
        .offset:         16
        .size:           8
        .value_kind:     global_buffer
      - .offset:         24
        .size:           4
        .value_kind:     by_value
      - .offset:         28
        .size:           4
        .value_kind:     by_value
      - .offset:         32
        .size:           4
        .value_kind:     hidden_block_count_x
      - .offset:         36
        .size:           4
        .value_kind:     hidden_block_count_y
      - .offset:         40
        .size:           4
        .value_kind:     hidden_block_count_z
      - .offset:         44
        .size:           2
        .value_kind:     hidden_group_size_x
      - .offset:         46
        .size:           2
        .value_kind:     hidden_group_size_y
      - .offset:         48
        .size:           2
        .value_kind:     hidden_group_size_z
      - .offset:         50
        .size:           2
        .value_kind:     hidden_remainder_x
      - .offset:         52
        .size:           2
        .value_kind:     hidden_remainder_y
      - .offset:         54
        .size:           2
        .value_kind:     hidden_remainder_z
      - .offset:         72
        .size:           8
        .value_kind:     hidden_global_offset_x
      - .offset:         80
        .size:           8
        .value_kind:     hidden_global_offset_y
      - .offset:         88
        .size:           8
        .value_kind:     hidden_global_offset_z
      - .offset:         96
        .size:           2
        .value_kind:     hidden_grid_dims
    .group_segment_fixed_size: 0
    .kernarg_segment_align: 8
    .kernarg_segment_size: 288
    .language:       OpenCL C
    .language_version:
      - 2
      - 0
    .max_flat_workgroup_size: 1024
    .name:           _Z18processRwmanFaninsPiS_S_ii
    .private_segment_fixed_size: 0
    .sgpr_count:     10
    .sgpr_spill_count: 0
    .symbol:         _Z18processRwmanFaninsPiS_S_ii.kd
    .uniform_work_group_size: 1
    .uses_dynamic_stack: false
    .vgpr_count:     6
    .vgpr_spill_count: 0
    .wavefront_size: 32
  - .args:
      - .address_space:  global
        .offset:         0
        .size:           8
        .value_kind:     global_buffer
      - .address_space:  global
        .offset:         8
        .size:           8
        .value_kind:     global_buffer
      - .offset:         16
        .size:           4
        .value_kind:     by_value
      - .offset:         24
        .size:           4
        .value_kind:     hidden_block_count_x
      - .offset:         28
        .size:           4
        .value_kind:     hidden_block_count_y
      - .offset:         32
        .size:           4
        .value_kind:     hidden_block_count_z
      - .offset:         36
        .size:           2
        .value_kind:     hidden_group_size_x
      - .offset:         38
        .size:           2
        .value_kind:     hidden_group_size_y
      - .offset:         40
        .size:           2
        .value_kind:     hidden_group_size_z
      - .offset:         42
        .size:           2
        .value_kind:     hidden_remainder_x
      - .offset:         44
        .size:           2
        .value_kind:     hidden_remainder_y
      - .offset:         46
        .size:           2
        .value_kind:     hidden_remainder_z
      - .offset:         64
        .size:           8
        .value_kind:     hidden_global_offset_x
      - .offset:         72
        .size:           8
        .value_kind:     hidden_global_offset_y
      - .offset:         80
        .size:           8
        .value_kind:     hidden_global_offset_z
      - .offset:         88
        .size:           2
        .value_kind:     hidden_grid_dims
    .group_segment_fixed_size: 0
    .kernarg_segment_align: 8
    .kernarg_segment_size: 280
    .language:       OpenCL C
    .language_version:
      - 2
      - 0
    .max_flat_workgroup_size: 1024
    .name:           _Z16processRwmanOutsPiS_i
    .private_segment_fixed_size: 0
    .sgpr_count:     7
    .sgpr_spill_count: 0
    .symbol:         _Z16processRwmanOutsPiS_i.kd
    .uniform_work_group_size: 1
    .uses_dynamic_stack: false
    .vgpr_count:     3
    .vgpr_spill_count: 0
    .wavefront_size: 32
  - .args:
      - .address_space:  global
        .offset:         0
        .size:           8
        .value_kind:     global_buffer
      - .address_space:  global
        .offset:         8
        .size:           8
        .value_kind:     global_buffer
      - .address_space:  global
        .offset:         16
        .size:           8
        .value_kind:     global_buffer
      - .address_space:  global
        .offset:         24
        .size:           8
        .value_kind:     global_buffer
      - .address_space:  global
        .offset:         32
        .size:           8
        .value_kind:     global_buffer
      - .address_space:  global
        .offset:         40
        .size:           8
        .value_kind:     global_buffer
      - .address_space:  global
        .offset:         48
        .size:           8
        .value_kind:     global_buffer
      - .address_space:  global
        .offset:         56
        .size:           8
        .value_kind:     global_buffer
      - .address_space:  global
        .offset:         64
        .size:           8
        .value_kind:     global_buffer
      - .offset:         72
        .size:           4
        .value_kind:     hidden_block_count_x
      - .offset:         76
        .size:           4
        .value_kind:     hidden_block_count_y
      - .offset:         80
        .size:           4
        .value_kind:     hidden_block_count_z
      - .offset:         84
        .size:           2
        .value_kind:     hidden_group_size_x
      - .offset:         86
        .size:           2
        .value_kind:     hidden_group_size_y
      - .offset:         88
        .size:           2
        .value_kind:     hidden_group_size_z
      - .offset:         90
        .size:           2
        .value_kind:     hidden_remainder_x
      - .offset:         92
        .size:           2
        .value_kind:     hidden_remainder_y
      - .offset:         94
        .size:           2
        .value_kind:     hidden_remainder_z
      - .offset:         112
        .size:           8
        .value_kind:     hidden_global_offset_x
      - .offset:         120
        .size:           8
        .value_kind:     hidden_global_offset_y
      - .offset:         128
        .size:           8
        .value_kind:     hidden_global_offset_z
      - .offset:         136
        .size:           2
        .value_kind:     hidden_grid_dims
      - .offset:         152
        .size:           8
        .value_kind:     hidden_hostcall_buffer
    .group_segment_fixed_size: 0
    .kernarg_segment_align: 8
    .kernarg_segment_size: 328
    .language:       OpenCL C
    .language_version:
      - 2
      - 0
    .max_flat_workgroup_size: 1024
    .name:           _Z16showDeviceKernelPiS_S_S_S_S_S_S_S_
    .private_segment_fixed_size: 0
    .sgpr_count:     68
    .sgpr_spill_count: 0
    .symbol:         _Z16showDeviceKernelPiS_S_S_S_S_S_S_S_.kd
    .uniform_work_group_size: 1
    .uses_dynamic_stack: false
    .vgpr_count:     57
    .vgpr_spill_count: 0
    .wavefront_size: 32
  - .args:
      - .address_space:  global
        .offset:         0
        .size:           8
        .value_kind:     global_buffer
      - .address_space:  global
        .offset:         8
        .size:           8
        .value_kind:     global_buffer
      - .address_space:  global
        .offset:         16
        .size:           8
        .value_kind:     global_buffer
      - .offset:         24
        .size:           4
        .value_kind:     hidden_block_count_x
      - .offset:         28
        .size:           4
        .value_kind:     hidden_block_count_y
      - .offset:         32
        .size:           4
        .value_kind:     hidden_block_count_z
      - .offset:         36
        .size:           2
        .value_kind:     hidden_group_size_x
      - .offset:         38
        .size:           2
        .value_kind:     hidden_group_size_y
      - .offset:         40
        .size:           2
        .value_kind:     hidden_group_size_z
      - .offset:         42
        .size:           2
        .value_kind:     hidden_remainder_x
      - .offset:         44
        .size:           2
        .value_kind:     hidden_remainder_y
      - .offset:         46
        .size:           2
        .value_kind:     hidden_remainder_z
      - .offset:         64
        .size:           8
        .value_kind:     hidden_global_offset_x
      - .offset:         72
        .size:           8
        .value_kind:     hidden_global_offset_y
      - .offset:         80
        .size:           8
        .value_kind:     hidden_global_offset_z
      - .offset:         88
        .size:           2
        .value_kind:     hidden_grid_dims
      - .offset:         104
        .size:           8
        .value_kind:     hidden_hostcall_buffer
    .group_segment_fixed_size: 0
    .kernarg_segment_align: 8
    .kernarg_segment_size: 280
    .language:       OpenCL C
    .language_version:
      - 2
      - 0
    .max_flat_workgroup_size: 1024
    .name:           _Z16printStatsKernelPKiS0_S0_
    .private_segment_fixed_size: 0
    .sgpr_count:     24
    .sgpr_spill_count: 0
    .symbol:         _Z16printStatsKernelPKiS0_S0_.kd
    .uniform_work_group_size: 1
    .uses_dynamic_stack: false
    .vgpr_count:     34
    .vgpr_spill_count: 0
    .wavefront_size: 32
  - .args:
      - .offset:         0
        .size:           4
        .value_kind:     by_value
      - .offset:         4
        .size:           4
        .value_kind:     by_value
      - .address_space:  global
        .offset:         8
        .size:           8
        .value_kind:     global_buffer
      - .address_space:  global
        .offset:         16
        .size:           8
        .value_kind:     global_buffer
      - .offset:         24
        .size:           4
        .value_kind:     hidden_block_count_x
      - .offset:         28
        .size:           4
        .value_kind:     hidden_block_count_y
      - .offset:         32
        .size:           4
        .value_kind:     hidden_block_count_z
      - .offset:         36
        .size:           2
        .value_kind:     hidden_group_size_x
      - .offset:         38
        .size:           2
        .value_kind:     hidden_group_size_y
      - .offset:         40
        .size:           2
        .value_kind:     hidden_group_size_z
      - .offset:         42
        .size:           2
        .value_kind:     hidden_remainder_x
      - .offset:         44
        .size:           2
        .value_kind:     hidden_remainder_y
      - .offset:         46
        .size:           2
        .value_kind:     hidden_remainder_z
      - .offset:         64
        .size:           8
        .value_kind:     hidden_global_offset_x
      - .offset:         72
        .size:           8
        .value_kind:     hidden_global_offset_y
      - .offset:         80
        .size:           8
        .value_kind:     hidden_global_offset_z
      - .offset:         88
        .size:           2
        .value_kind:     hidden_grid_dims
    .group_segment_fixed_size: 0
    .kernarg_segment_align: 8
    .kernarg_segment_size: 280
    .language:       OpenCL C
    .language_version:
      - 2
      - 0
    .max_flat_workgroup_size: 1024
    .name:           _Z17updateDeviceStatsiiPiS_
    .private_segment_fixed_size: 0
    .sgpr_count:     8
    .sgpr_spill_count: 0
    .symbol:         _Z17updateDeviceStatsiiPiS_.kd
    .uniform_work_group_size: 1
    .uses_dynamic_stack: false
    .vgpr_count:     3
    .vgpr_spill_count: 0
    .wavefront_size: 32
amdhsa.target:   amdgcn-amd-amdhsa--gfx1250
amdhsa.version:
  - 1
  - 2
...

	.end_amdgpu_metadata
